;; amdgpu-corpus repo=ROCm/rocBLAS kind=compiled arch=gfx950 opt=O3
	.amdgcn_target "amdgcn-amd-amdhsa--gfx950"
	.amdhsa_code_object_version 6
	.section	.text._ZL25rocblas_symm_scale_kernelILi128ELi8EPKfPfEviiT1_T2_llli,"axG",@progbits,_ZL25rocblas_symm_scale_kernelILi128ELi8EPKfPfEviiT1_T2_llli,comdat
	.globl	_ZL25rocblas_symm_scale_kernelILi128ELi8EPKfPfEviiT1_T2_llli ; -- Begin function _ZL25rocblas_symm_scale_kernelILi128ELi8EPKfPfEviiT1_T2_llli
	.p2align	8
	.type	_ZL25rocblas_symm_scale_kernelILi128ELi8EPKfPfEviiT1_T2_llli,@function
_ZL25rocblas_symm_scale_kernelILi128ELi8EPKfPfEviiT1_T2_llli: ; @_ZL25rocblas_symm_scale_kernelILi128ELi8EPKfPfEviiT1_T2_llli
; %bb.0:
	s_load_dwordx8 s[8:15], s[0:1], 0x8
	s_waitcnt lgkmcnt(0)
	s_load_dword s16, s[8:9], 0x0
	s_waitcnt lgkmcnt(0)
	v_cmp_eq_f32_e64 s[6:7], s16, 1.0
	s_and_b64 vcc, exec, s[6:7]
	s_cbranch_vccnz .LBB0_7
; %bb.1:
	s_load_dwordx2 s[8:9], s[0:1], 0x0
	v_and_b32_e32 v1, 0x3ff, v0
	v_bfe_u32 v0, v0, 10, 10
	v_lshl_add_u32 v2, s2, 7, v1
	v_lshl_add_u32 v0, s3, 3, v0
	v_mov_b32_e32 v1, 0
	s_waitcnt lgkmcnt(0)
	s_ashr_i32 s7, s9, 31
	s_mov_b32 s6, s9
	v_cmp_gt_u32_e32 vcc, s8, v2
	v_cmp_gt_i64_e64 s[2:3], s[6:7], v[0:1]
	s_and_b64 s[2:3], vcc, s[2:3]
	s_and_saveexec_b64 s[8:9], s[2:3]
	s_cbranch_execz .LBB0_7
; %bb.2:
	s_load_dword s2, s[0:1], 0x3c
	s_load_dwordx2 s[8:9], s[0:1], 0x28
	v_mov_b32_e32 v3, v1
	s_mov_b32 s3, 0
	s_waitcnt lgkmcnt(0)
	s_lshl_b32 s2, s2, 3
	s_mul_i32 s0, s9, s4
	s_mul_hi_u32 s1, s8, s4
	s_add_i32 s1, s1, s0
	s_mul_i32 s0, s8, s4
	v_mad_u64_u32 v[4:5], s[4:5], s14, v0, 0
	v_mov_b32_e32 v6, v5
	v_mad_u64_u32 v[6:7], s[4:5], s15, v0, v[6:7]
	s_lshl_b64 s[0:1], s[0:1], 2
	s_lshl_b64 s[4:5], s[12:13], 2
	s_add_u32 s0, s4, s0
	v_mov_b32_e32 v5, v6
	s_addc_u32 s1, s5, s1
	v_lshl_add_u64 v[4:5], v[4:5], 2, s[0:1]
	s_mul_i32 s0, s15, s2
	s_mul_hi_u32 s1, s14, s2
	s_add_i32 s1, s1, s0
	s_mul_i32 s0, s14, s2
	s_lshl_b64 s[4:5], s[0:1], 2
	v_cmp_neq_f32_e64 s[0:1], s16, 0
	v_lshl_add_u64 v[2:3], v[2:3], 2, v[4:5]
	v_lshl_add_u64 v[2:3], s[10:11], 0, v[2:3]
	v_cndmask_b32_e64 v4, 0, 1, s[0:1]
	s_mov_b64 s[8:9], 0
	v_cmp_ne_u32_e64 s[0:1], 1, v4
	s_branch .LBB0_5
.LBB0_3:                                ;   in Loop: Header=BB0_5 Depth=1
	global_load_dword v4, v[2:3], off
	s_waitcnt vmcnt(0)
	v_mul_f32_e32 v4, s16, v4
.LBB0_4:                                ;   in Loop: Header=BB0_5 Depth=1
	v_lshl_add_u64 v[0:1], v[0:1], 0, s[2:3]
	v_cmp_le_i64_e32 vcc, s[6:7], v[0:1]
	global_store_dword v[2:3], v4, off
	s_or_b64 s[8:9], vcc, s[8:9]
	v_lshl_add_u64 v[2:3], v[2:3], 0, s[4:5]
	s_andn2_b64 exec, exec, s[8:9]
	s_cbranch_execz .LBB0_7
.LBB0_5:                                ; =>This Inner Loop Header: Depth=1
	s_and_b64 vcc, exec, s[0:1]
	s_cbranch_vccz .LBB0_3
; %bb.6:                                ;   in Loop: Header=BB0_5 Depth=1
	v_mov_b32_e32 v4, 0
	s_branch .LBB0_4
.LBB0_7:
	s_endpgm
	.section	.rodata,"a",@progbits
	.p2align	6, 0x0
	.amdhsa_kernel _ZL25rocblas_symm_scale_kernelILi128ELi8EPKfPfEviiT1_T2_llli
		.amdhsa_group_segment_fixed_size 0
		.amdhsa_private_segment_fixed_size 0
		.amdhsa_kernarg_size 312
		.amdhsa_user_sgpr_count 2
		.amdhsa_user_sgpr_dispatch_ptr 0
		.amdhsa_user_sgpr_queue_ptr 0
		.amdhsa_user_sgpr_kernarg_segment_ptr 1
		.amdhsa_user_sgpr_dispatch_id 0
		.amdhsa_user_sgpr_kernarg_preload_length 0
		.amdhsa_user_sgpr_kernarg_preload_offset 0
		.amdhsa_user_sgpr_private_segment_size 0
		.amdhsa_uses_dynamic_stack 0
		.amdhsa_enable_private_segment 0
		.amdhsa_system_sgpr_workgroup_id_x 1
		.amdhsa_system_sgpr_workgroup_id_y 1
		.amdhsa_system_sgpr_workgroup_id_z 1
		.amdhsa_system_sgpr_workgroup_info 0
		.amdhsa_system_vgpr_workitem_id 1
		.amdhsa_next_free_vgpr 8
		.amdhsa_next_free_sgpr 17
		.amdhsa_accum_offset 8
		.amdhsa_reserve_vcc 1
		.amdhsa_float_round_mode_32 0
		.amdhsa_float_round_mode_16_64 0
		.amdhsa_float_denorm_mode_32 3
		.amdhsa_float_denorm_mode_16_64 3
		.amdhsa_dx10_clamp 1
		.amdhsa_ieee_mode 1
		.amdhsa_fp16_overflow 0
		.amdhsa_tg_split 0
		.amdhsa_exception_fp_ieee_invalid_op 0
		.amdhsa_exception_fp_denorm_src 0
		.amdhsa_exception_fp_ieee_div_zero 0
		.amdhsa_exception_fp_ieee_overflow 0
		.amdhsa_exception_fp_ieee_underflow 0
		.amdhsa_exception_fp_ieee_inexact 0
		.amdhsa_exception_int_div_zero 0
	.end_amdhsa_kernel
	.section	.text._ZL25rocblas_symm_scale_kernelILi128ELi8EPKfPfEviiT1_T2_llli,"axG",@progbits,_ZL25rocblas_symm_scale_kernelILi128ELi8EPKfPfEviiT1_T2_llli,comdat
.Lfunc_end0:
	.size	_ZL25rocblas_symm_scale_kernelILi128ELi8EPKfPfEviiT1_T2_llli, .Lfunc_end0-_ZL25rocblas_symm_scale_kernelILi128ELi8EPKfPfEviiT1_T2_llli
                                        ; -- End function
	.set _ZL25rocblas_symm_scale_kernelILi128ELi8EPKfPfEviiT1_T2_llli.num_vgpr, 8
	.set _ZL25rocblas_symm_scale_kernelILi128ELi8EPKfPfEviiT1_T2_llli.num_agpr, 0
	.set _ZL25rocblas_symm_scale_kernelILi128ELi8EPKfPfEviiT1_T2_llli.numbered_sgpr, 17
	.set _ZL25rocblas_symm_scale_kernelILi128ELi8EPKfPfEviiT1_T2_llli.num_named_barrier, 0
	.set _ZL25rocblas_symm_scale_kernelILi128ELi8EPKfPfEviiT1_T2_llli.private_seg_size, 0
	.set _ZL25rocblas_symm_scale_kernelILi128ELi8EPKfPfEviiT1_T2_llli.uses_vcc, 1
	.set _ZL25rocblas_symm_scale_kernelILi128ELi8EPKfPfEviiT1_T2_llli.uses_flat_scratch, 0
	.set _ZL25rocblas_symm_scale_kernelILi128ELi8EPKfPfEviiT1_T2_llli.has_dyn_sized_stack, 0
	.set _ZL25rocblas_symm_scale_kernelILi128ELi8EPKfPfEviiT1_T2_llli.has_recursion, 0
	.set _ZL25rocblas_symm_scale_kernelILi128ELi8EPKfPfEviiT1_T2_llli.has_indirect_call, 0
	.section	.AMDGPU.csdata,"",@progbits
; Kernel info:
; codeLenInByte = 360
; TotalNumSgprs: 23
; NumVgprs: 8
; NumAgprs: 0
; TotalNumVgprs: 8
; ScratchSize: 0
; MemoryBound: 0
; FloatMode: 240
; IeeeMode: 1
; LDSByteSize: 0 bytes/workgroup (compile time only)
; SGPRBlocks: 2
; VGPRBlocks: 0
; NumSGPRsForWavesPerEU: 23
; NumVGPRsForWavesPerEU: 8
; AccumOffset: 8
; Occupancy: 8
; WaveLimiterHint : 0
; COMPUTE_PGM_RSRC2:SCRATCH_EN: 0
; COMPUTE_PGM_RSRC2:USER_SGPR: 2
; COMPUTE_PGM_RSRC2:TRAP_HANDLER: 0
; COMPUTE_PGM_RSRC2:TGID_X_EN: 1
; COMPUTE_PGM_RSRC2:TGID_Y_EN: 1
; COMPUTE_PGM_RSRC2:TGID_Z_EN: 1
; COMPUTE_PGM_RSRC2:TIDIG_COMP_CNT: 1
; COMPUTE_PGM_RSRC3_GFX90A:ACCUM_OFFSET: 1
; COMPUTE_PGM_RSRC3_GFX90A:TG_SPLIT: 0
	.section	.text._ZL24rocblas_symm_hemm_kernelILb0ELb0ELi32EPKfS1_PfEvbiiT2_T3_lllS4_lllT4_llli,"axG",@progbits,_ZL24rocblas_symm_hemm_kernelILb0ELb0ELi32EPKfS1_PfEvbiiT2_T3_lllS4_lllT4_llli,comdat
	.globl	_ZL24rocblas_symm_hemm_kernelILb0ELb0ELi32EPKfS1_PfEvbiiT2_T3_lllS4_lllT4_llli ; -- Begin function _ZL24rocblas_symm_hemm_kernelILb0ELb0ELi32EPKfS1_PfEvbiiT2_T3_lllS4_lllT4_llli
	.p2align	8
	.type	_ZL24rocblas_symm_hemm_kernelILb0ELb0ELi32EPKfS1_PfEvbiiT2_T3_lllS4_lllT4_llli,@function
_ZL24rocblas_symm_hemm_kernelILb0ELb0ELi32EPKfS1_PfEvbiiT2_T3_lllS4_lllT4_llli: ; @_ZL24rocblas_symm_hemm_kernelILb0ELb0ELi32EPKfS1_PfEvbiiT2_T3_lllS4_lllT4_llli
; %bb.0:
	s_load_dwordx16 s[8:23], s[0:1], 0x10
	s_waitcnt lgkmcnt(0)
	s_load_dword s33, s[8:9], 0x0
	s_waitcnt lgkmcnt(0)
	v_cmp_eq_f32_e64 s[6:7], s33, 0
	s_and_b64 vcc, exec, s[6:7]
	s_cbranch_vccnz .LBB1_13
; %bb.1:
	s_load_dwordx4 s[36:39], s[0:1], 0x0
	s_waitcnt lgkmcnt(0)
	s_add_i32 s5, s38, -1
	s_ashr_i32 s6, s5, 31
	s_lshr_b32 s6, s6, 27
	s_add_i32 s5, s5, s6
	s_ashr_i32 s34, s5, 5
	s_cmp_gt_i32 s3, s34
	s_cbranch_scc1 .LBB1_13
; %bb.2:
	s_mul_i32 s5, s17, s4
	s_mul_hi_u32 s6, s16, s4
	s_load_dwordx8 s[24:31], s[0:1], 0x50
	s_load_dwordx2 s[8:9], s[0:1], 0x70
	s_add_i32 s7, s6, s5
	s_mul_i32 s6, s16, s4
	s_lshl_b64 s[6:7], s[6:7], 2
	s_add_u32 s5, s10, s6
	s_addc_u32 s11, s11, s7
	s_lshl_b64 s[6:7], s[12:13], 2
	s_add_u32 s10, s5, s6
	s_waitcnt lgkmcnt(0)
	s_mul_i32 s5, s25, s4
	s_mul_hi_u32 s6, s24, s4
	s_addc_u32 s11, s11, s7
	s_add_i32 s7, s6, s5
	s_mul_i32 s6, s24, s4
	s_lshl_b64 s[6:7], s[6:7], 2
	s_add_u32 s5, s18, s6
	s_addc_u32 s13, s19, s7
	s_lshl_b64 s[6:7], s[20:21], 2
	s_add_u32 s12, s5, s6
	s_addc_u32 s13, s13, s7
	s_bitcmp1_b32 s36, 0
	s_load_dword s20, s[0:1], 0x84
	s_mul_i32 s0, s9, s4
	s_mul_hi_u32 s1, s8, s4
	s_cselect_b64 s[6:7], -1, 0
	s_add_i32 s1, s1, s0
	s_mul_i32 s0, s8, s4
	s_lshl_b64 s[0:1], s[0:1], 2
	s_add_u32 s4, s26, s0
	s_addc_u32 s5, s27, s1
	s_lshl_b64 s[0:1], s[28:29], 2
	s_add_u32 s4, s4, s0
	v_and_b32_e32 v10, 0x3ff, v0
	s_addc_u32 s5, s5, s1
	v_lshl_add_u32 v2, s2, 5, v10
	v_bfe_u32 v11, v0, 10, 10
	s_cmp_gt_i32 s37, 0
	v_lshlrev_b32_e32 v12, 7, v10
	v_lshlrev_b32_e32 v0, 2, v11
	v_ashrrev_i32_e32 v3, 31, v2
	v_add_u32_e32 v13, v12, v0
	v_or_b32_e32 v14, 0x1000, v0
	v_lshl_add_u64 v[0:1], v[2:3], 2, s[4:5]
	s_cselect_b64 s[4:5], -1, 0
	v_cndmask_b32_e64 v3, 0, 1, s[4:5]
	v_add_u32_e32 v15, v14, v12
	v_cmp_gt_i32_e64 s[0:1], s37, v2
	v_cmp_ne_u32_e64 s[4:5], 1, v3
	v_add_u32_e32 v3, 0x400, v14
	v_add_u32_e32 v16, 0x800, v14
	v_add_u32_e32 v17, 0xc00, v14
	s_branch .LBB1_4
.LBB1_3:                                ;   in Loop: Header=BB1_4 Depth=1
	s_waitcnt lgkmcnt(0)
	s_add_i32 s3, s3, s20
	s_cmp_gt_i32 s3, s34
	s_cbranch_scc1 .LBB1_13
.LBB1_4:                                ; =>This Loop Header: Depth=1
                                        ;     Child Loop BB1_7 Depth 2
	s_and_b64 vcc, exec, s[4:5]
	s_cbranch_vccnz .LBB1_3
; %bb.5:                                ;   in Loop: Header=BB1_4 Depth=1
	v_lshl_add_u32 v6, s3, 5, v11
	v_ashrrev_i32_e32 v7, 31, v6
	v_mul_lo_u32 v8, s22, v7
	v_mul_lo_u32 v9, s23, v6
	v_mad_u64_u32 v[4:5], s[8:9], s22, v6, 0
	v_cmp_gt_i32_e32 vcc, s38, v6
	v_add3_u32 v5, v5, v8, v9
	v_mul_lo_u32 v8, s30, v7
	v_mul_lo_u32 v9, s31, v6
	v_mad_u64_u32 v[6:7], s[8:9], s30, v6, 0
	v_add3_u32 v7, v7, v8, v9
	v_lshl_add_u64 v[4:5], v[4:5], 2, s[12:13]
	s_and_b64 s[16:17], s[0:1], vcc
	v_lshl_add_u64 v[6:7], v[6:7], 2, v[0:1]
	s_mov_b32 s2, 0
	s_branch .LBB1_7
.LBB1_6:                                ;   in Loop: Header=BB1_7 Depth=2
	s_or_b64 exec, exec, s[8:9]
	s_add_i32 s2, s2, 32
	s_cmp_ge_i32 s2, s37
	s_barrier
	s_cbranch_scc1 .LBB1_3
.LBB1_7:                                ;   Parent Loop BB1_4 Depth=1
                                        ; =>  This Inner Loop Header: Depth=2
	v_add_u32_e32 v9, s2, v11
	v_cndmask_b32_e64 v8, v9, v2, s[6:7]
	v_cndmask_b32_e64 v18, v2, v9, s[6:7]
	v_cmp_gt_i32_e64 s[8:9], v8, v18
	v_mov_b32_e32 v19, 0
	s_nop 0
	v_cndmask_b32_e64 v8, v2, v9, s[8:9]
	v_cndmask_b32_e64 v9, v9, v2, s[8:9]
	v_max_i32_e32 v18, v8, v9
	v_cmp_gt_i32_e64 s[8:9], s37, v18
	v_mov_b32_e32 v18, 0
	s_and_saveexec_b64 s[18:19], s[8:9]
	s_cbranch_execz .LBB1_9
; %bb.8:                                ;   in Loop: Header=BB1_7 Depth=2
	v_ashrrev_i32_e32 v19, 31, v9
	v_mul_lo_u32 v22, s15, v9
	v_mul_lo_u32 v19, s14, v19
	v_mad_u64_u32 v[20:21], s[8:9], s14, v9, 0
	v_add3_u32 v21, v21, v19, v22
	v_ashrrev_i32_e32 v9, 31, v8
	v_lshl_add_u64 v[20:21], v[20:21], 2, s[10:11]
	v_lshl_add_u64 v[8:9], v[8:9], 2, v[20:21]
	global_load_dword v19, v[8:9], off
.LBB1_9:                                ;   in Loop: Header=BB1_7 Depth=2
	s_or_b64 exec, exec, s[18:19]
	v_add_u32_e32 v8, s2, v10
	v_cmp_gt_i32_e64 s[8:9], s37, v8
	s_and_b64 s[18:19], s[8:9], vcc
	s_waitcnt vmcnt(0)
	ds_write_b32 v13, v19
	s_and_saveexec_b64 s[8:9], s[18:19]
	s_cbranch_execz .LBB1_11
; %bb.10:                               ;   in Loop: Header=BB1_7 Depth=2
	v_ashrrev_i32_e32 v9, 31, v8
	v_lshl_add_u64 v[8:9], v[8:9], 2, v[4:5]
	global_load_dword v18, v[8:9], off
.LBB1_11:                               ;   in Loop: Header=BB1_7 Depth=2
	s_or_b64 exec, exec, s[8:9]
	s_waitcnt vmcnt(0)
	ds_write_b32 v15, v18
	s_waitcnt lgkmcnt(0)
	s_barrier
	s_and_saveexec_b64 s[8:9], s[16:17]
	s_cbranch_execz .LBB1_6
; %bb.12:                               ;   in Loop: Header=BB1_7 Depth=2
	global_load_dword v38, v[6:7], off
	ds_read2_b32 v[8:9], v14 offset1:32
	ds_read_b128 v[18:21], v12
	ds_read_b128 v[22:25], v12 offset:16
	ds_read2_b32 v[34:35], v14 offset0:64 offset1:96
	ds_read_b128 v[26:29], v12 offset:32
	ds_read_b128 v[30:33], v12 offset:48
	ds_read2_b32 v[36:37], v14 offset0:128 offset1:160
	s_waitcnt lgkmcnt(5)
	v_fma_f32 v39, v18, v8, 0
	v_fmac_f32_e32 v39, v19, v9
	ds_read2_b32 v[8:9], v14 offset0:192 offset1:224
	s_waitcnt lgkmcnt(4)
	v_fmac_f32_e32 v39, v20, v34
	v_fmac_f32_e32 v39, v21, v35
	ds_read2_b32 v[18:19], v3 offset1:32
	s_waitcnt lgkmcnt(2)
	v_fmac_f32_e32 v39, v22, v36
	v_fmac_f32_e32 v39, v23, v37
	ds_read2_b32 v[20:21], v3 offset0:64 offset1:96
	s_waitcnt lgkmcnt(2)
	v_fmac_f32_e32 v39, v24, v8
	v_fmac_f32_e32 v39, v25, v9
	ds_read2_b32 v[8:9], v3 offset0:128 offset1:160
	s_waitcnt lgkmcnt(2)
	v_fmac_f32_e32 v39, v26, v18
	v_fmac_f32_e32 v39, v27, v19
	s_waitcnt lgkmcnt(1)
	v_fmac_f32_e32 v39, v28, v20
	ds_read2_b32 v[22:23], v3 offset0:192 offset1:224
	v_fmac_f32_e32 v39, v29, v21
	s_waitcnt lgkmcnt(1)
	v_fmac_f32_e32 v39, v30, v8
	v_fmac_f32_e32 v39, v31, v9
	ds_read_b128 v[18:21], v12 offset:64
	ds_read2_b32 v[8:9], v16 offset1:32
	s_waitcnt lgkmcnt(2)
	v_fmac_f32_e32 v39, v32, v22
	v_fmac_f32_e32 v39, v33, v23
	ds_read2_b32 v[26:27], v16 offset0:64 offset1:96
	ds_read_b128 v[22:25], v12 offset:80
	ds_read2_b32 v[28:29], v16 offset0:128 offset1:160
	s_waitcnt lgkmcnt(3)
	v_fmac_f32_e32 v39, v18, v8
	v_fmac_f32_e32 v39, v19, v9
	ds_read2_b32 v[8:9], v16 offset0:192 offset1:224
	s_waitcnt lgkmcnt(3)
	v_fmac_f32_e32 v39, v20, v26
	v_fmac_f32_e32 v39, v21, v27
	ds_read2_b32 v[26:27], v17 offset1:32
	ds_read_b128 v[18:21], v12 offset:96
	s_waitcnt lgkmcnt(3)
	v_fmac_f32_e32 v39, v22, v28
	v_fmac_f32_e32 v39, v23, v29
	s_waitcnt lgkmcnt(2)
	v_pk_mul_f32 v[8:9], v[24:25], v[8:9]
	s_waitcnt lgkmcnt(0)
	v_pk_mul_f32 v[18:19], v[18:19], v[26:27]
	v_add_f32_e32 v8, v39, v8
	v_add_f32_e32 v28, v8, v9
	ds_read2_b32 v[8:9], v17 offset0:64 offset1:96
	ds_read_b128 v[22:25], v12 offset:112
	v_add_f32_e32 v18, v28, v18
	v_add_f32_e32 v26, v18, v19
	ds_read2_b32 v[18:19], v17 offset0:128 offset1:160
	s_waitcnt lgkmcnt(2)
	v_pk_mul_f32 v[8:9], v[20:21], v[8:9]
	ds_read2_b32 v[20:21], v17 offset0:192 offset1:224
	v_add_f32_e32 v8, v26, v8
	v_add_f32_e32 v26, v8, v9
	s_waitcnt lgkmcnt(1)
	v_pk_mul_f32 v[8:9], v[22:23], v[18:19]
	s_nop 0
	v_add_f32_e32 v8, v26, v8
	v_add_f32_e32 v18, v8, v9
	s_waitcnt lgkmcnt(0)
	v_pk_mul_f32 v[8:9], v[24:25], v[20:21]
	s_nop 0
	v_add_f32_e32 v8, v18, v8
	v_add_f32_e32 v8, v8, v9
	s_waitcnt vmcnt(0)
	v_fmac_f32_e32 v38, s33, v8
	global_store_dword v[6:7], v38, off
	s_branch .LBB1_6
.LBB1_13:
	s_endpgm
	.section	.rodata,"a",@progbits
	.p2align	6, 0x0
	.amdhsa_kernel _ZL24rocblas_symm_hemm_kernelILb0ELb0ELi32EPKfS1_PfEvbiiT2_T3_lllS4_lllT4_llli
		.amdhsa_group_segment_fixed_size 8192
		.amdhsa_private_segment_fixed_size 0
		.amdhsa_kernarg_size 384
		.amdhsa_user_sgpr_count 2
		.amdhsa_user_sgpr_dispatch_ptr 0
		.amdhsa_user_sgpr_queue_ptr 0
		.amdhsa_user_sgpr_kernarg_segment_ptr 1
		.amdhsa_user_sgpr_dispatch_id 0
		.amdhsa_user_sgpr_kernarg_preload_length 0
		.amdhsa_user_sgpr_kernarg_preload_offset 0
		.amdhsa_user_sgpr_private_segment_size 0
		.amdhsa_uses_dynamic_stack 0
		.amdhsa_enable_private_segment 0
		.amdhsa_system_sgpr_workgroup_id_x 1
		.amdhsa_system_sgpr_workgroup_id_y 1
		.amdhsa_system_sgpr_workgroup_id_z 1
		.amdhsa_system_sgpr_workgroup_info 0
		.amdhsa_system_vgpr_workitem_id 1
		.amdhsa_next_free_vgpr 40
		.amdhsa_next_free_sgpr 40
		.amdhsa_accum_offset 40
		.amdhsa_reserve_vcc 1
		.amdhsa_float_round_mode_32 0
		.amdhsa_float_round_mode_16_64 0
		.amdhsa_float_denorm_mode_32 3
		.amdhsa_float_denorm_mode_16_64 3
		.amdhsa_dx10_clamp 1
		.amdhsa_ieee_mode 1
		.amdhsa_fp16_overflow 0
		.amdhsa_tg_split 0
		.amdhsa_exception_fp_ieee_invalid_op 0
		.amdhsa_exception_fp_denorm_src 0
		.amdhsa_exception_fp_ieee_div_zero 0
		.amdhsa_exception_fp_ieee_overflow 0
		.amdhsa_exception_fp_ieee_underflow 0
		.amdhsa_exception_fp_ieee_inexact 0
		.amdhsa_exception_int_div_zero 0
	.end_amdhsa_kernel
	.section	.text._ZL24rocblas_symm_hemm_kernelILb0ELb0ELi32EPKfS1_PfEvbiiT2_T3_lllS4_lllT4_llli,"axG",@progbits,_ZL24rocblas_symm_hemm_kernelILb0ELb0ELi32EPKfS1_PfEvbiiT2_T3_lllS4_lllT4_llli,comdat
.Lfunc_end1:
	.size	_ZL24rocblas_symm_hemm_kernelILb0ELb0ELi32EPKfS1_PfEvbiiT2_T3_lllS4_lllT4_llli, .Lfunc_end1-_ZL24rocblas_symm_hemm_kernelILb0ELb0ELi32EPKfS1_PfEvbiiT2_T3_lllS4_lllT4_llli
                                        ; -- End function
	.set _ZL24rocblas_symm_hemm_kernelILb0ELb0ELi32EPKfS1_PfEvbiiT2_T3_lllS4_lllT4_llli.num_vgpr, 40
	.set _ZL24rocblas_symm_hemm_kernelILb0ELb0ELi32EPKfS1_PfEvbiiT2_T3_lllS4_lllT4_llli.num_agpr, 0
	.set _ZL24rocblas_symm_hemm_kernelILb0ELb0ELi32EPKfS1_PfEvbiiT2_T3_lllS4_lllT4_llli.numbered_sgpr, 40
	.set _ZL24rocblas_symm_hemm_kernelILb0ELb0ELi32EPKfS1_PfEvbiiT2_T3_lllS4_lllT4_llli.num_named_barrier, 0
	.set _ZL24rocblas_symm_hemm_kernelILb0ELb0ELi32EPKfS1_PfEvbiiT2_T3_lllS4_lllT4_llli.private_seg_size, 0
	.set _ZL24rocblas_symm_hemm_kernelILb0ELb0ELi32EPKfS1_PfEvbiiT2_T3_lllS4_lllT4_llli.uses_vcc, 1
	.set _ZL24rocblas_symm_hemm_kernelILb0ELb0ELi32EPKfS1_PfEvbiiT2_T3_lllS4_lllT4_llli.uses_flat_scratch, 0
	.set _ZL24rocblas_symm_hemm_kernelILb0ELb0ELi32EPKfS1_PfEvbiiT2_T3_lllS4_lllT4_llli.has_dyn_sized_stack, 0
	.set _ZL24rocblas_symm_hemm_kernelILb0ELb0ELi32EPKfS1_PfEvbiiT2_T3_lllS4_lllT4_llli.has_recursion, 0
	.set _ZL24rocblas_symm_hemm_kernelILb0ELb0ELi32EPKfS1_PfEvbiiT2_T3_lllS4_lllT4_llli.has_indirect_call, 0
	.section	.AMDGPU.csdata,"",@progbits
; Kernel info:
; codeLenInByte = 1208
; TotalNumSgprs: 46
; NumVgprs: 40
; NumAgprs: 0
; TotalNumVgprs: 40
; ScratchSize: 0
; MemoryBound: 0
; FloatMode: 240
; IeeeMode: 1
; LDSByteSize: 8192 bytes/workgroup (compile time only)
; SGPRBlocks: 5
; VGPRBlocks: 4
; NumSGPRsForWavesPerEU: 46
; NumVGPRsForWavesPerEU: 40
; AccumOffset: 40
; Occupancy: 8
; WaveLimiterHint : 0
; COMPUTE_PGM_RSRC2:SCRATCH_EN: 0
; COMPUTE_PGM_RSRC2:USER_SGPR: 2
; COMPUTE_PGM_RSRC2:TRAP_HANDLER: 0
; COMPUTE_PGM_RSRC2:TGID_X_EN: 1
; COMPUTE_PGM_RSRC2:TGID_Y_EN: 1
; COMPUTE_PGM_RSRC2:TGID_Z_EN: 1
; COMPUTE_PGM_RSRC2:TIDIG_COMP_CNT: 1
; COMPUTE_PGM_RSRC3_GFX90A:ACCUM_OFFSET: 9
; COMPUTE_PGM_RSRC3_GFX90A:TG_SPLIT: 0
	.section	.text._ZL24rocblas_symm_hemm_kernelILb0ELb1ELi32EPKfS1_PfEvbiiT2_T3_lllS4_lllT4_llli,"axG",@progbits,_ZL24rocblas_symm_hemm_kernelILb0ELb1ELi32EPKfS1_PfEvbiiT2_T3_lllS4_lllT4_llli,comdat
	.globl	_ZL24rocblas_symm_hemm_kernelILb0ELb1ELi32EPKfS1_PfEvbiiT2_T3_lllS4_lllT4_llli ; -- Begin function _ZL24rocblas_symm_hemm_kernelILb0ELb1ELi32EPKfS1_PfEvbiiT2_T3_lllS4_lllT4_llli
	.p2align	8
	.type	_ZL24rocblas_symm_hemm_kernelILb0ELb1ELi32EPKfS1_PfEvbiiT2_T3_lllS4_lllT4_llli,@function
_ZL24rocblas_symm_hemm_kernelILb0ELb1ELi32EPKfS1_PfEvbiiT2_T3_lllS4_lllT4_llli: ; @_ZL24rocblas_symm_hemm_kernelILb0ELb1ELi32EPKfS1_PfEvbiiT2_T3_lllS4_lllT4_llli
; %bb.0:
	s_load_dwordx16 s[8:23], s[0:1], 0x10
	s_waitcnt lgkmcnt(0)
	s_load_dword s33, s[8:9], 0x0
	s_waitcnt lgkmcnt(0)
	v_cmp_eq_f32_e64 s[6:7], s33, 0
	s_and_b64 vcc, exec, s[6:7]
	s_cbranch_vccnz .LBB2_13
; %bb.1:
	s_load_dwordx4 s[36:39], s[0:1], 0x0
	s_waitcnt lgkmcnt(0)
	s_add_i32 s5, s38, -1
	s_ashr_i32 s6, s5, 31
	s_lshr_b32 s6, s6, 27
	s_add_i32 s5, s5, s6
	s_ashr_i32 s34, s5, 5
	s_cmp_gt_i32 s3, s34
	s_cbranch_scc1 .LBB2_13
; %bb.2:
	s_mul_i32 s5, s17, s4
	s_mul_hi_u32 s6, s16, s4
	s_add_i32 s7, s6, s5
	s_mul_i32 s6, s16, s4
	s_lshl_b64 s[6:7], s[6:7], 2
	s_add_u32 s5, s10, s6
	s_addc_u32 s9, s11, s7
	s_load_dwordx2 s[10:11], s[0:1], 0x70
	s_lshl_b64 s[6:7], s[12:13], 2
	s_add_u32 s8, s5, s6
	s_addc_u32 s9, s9, s7
	s_load_dwordx8 s[24:31], s[0:1], 0x50
	s_load_dword s16, s[0:1], 0x84
	s_bitcmp1_b32 s36, 0
	s_waitcnt lgkmcnt(0)
	s_mul_i32 s0, s11, s4
	s_mul_hi_u32 s1, s10, s4
	s_cselect_b64 s[6:7], -1, 0
	s_add_i32 s1, s1, s0
	s_mul_i32 s0, s10, s4
	s_lshl_b64 s[0:1], s[0:1], 2
	s_add_u32 s5, s26, s0
	s_addc_u32 s11, s27, s1
	s_lshl_b64 s[0:1], s[28:29], 2
	s_add_u32 s10, s5, s0
	s_addc_u32 s11, s11, s1
	s_mul_i32 s0, s25, s4
	s_mul_hi_u32 s1, s24, s4
	s_add_i32 s1, s1, s0
	s_mul_i32 s0, s24, s4
	s_lshl_b64 s[0:1], s[0:1], 2
	s_add_u32 s4, s18, s0
	s_addc_u32 s5, s19, s1
	s_lshl_b64 s[0:1], s[20:21], 2
	v_and_b32_e32 v8, 0x3ff, v0
	s_add_u32 s4, s4, s0
	v_lshl_add_u32 v2, s2, 5, v8
	s_addc_u32 s5, s5, s1
	v_ashrrev_i32_e32 v3, 31, v2
	v_bfe_u32 v9, v0, 10, 10
	s_cmp_gt_i32 s38, 0
	v_cmp_gt_i32_e64 s[0:1], s37, v2
	v_lshlrev_b64 v[2:3], 2, v[2:3]
	v_lshl_add_u64 v[0:1], s[4:5], 0, v[2:3]
	v_lshlrev_b32_e32 v10, 7, v8
	v_lshlrev_b32_e32 v4, 2, v9
	s_cselect_b64 s[4:5], -1, 0
	v_add_u32_e32 v11, v10, v4
	v_or_b32_e32 v12, 0x1000, v4
	v_cndmask_b32_e64 v4, 0, 1, s[4:5]
	v_add_u32_e32 v13, v12, v10
	v_lshl_add_u64 v[2:3], s[10:11], 0, v[2:3]
	v_cmp_ne_u32_e64 s[4:5], 1, v4
	v_add_u32_e32 v14, 0x400, v12
	v_add_u32_e32 v15, 0x800, v12
	;; [unrolled: 1-line block ×3, first 2 shown]
	s_branch .LBB2_4
.LBB2_3:                                ;   in Loop: Header=BB2_4 Depth=1
	s_add_i32 s3, s3, s16
	s_cmp_gt_i32 s3, s34
	s_cbranch_scc1 .LBB2_13
.LBB2_4:                                ; =>This Loop Header: Depth=1
                                        ;     Child Loop BB2_7 Depth 2
	s_and_b64 vcc, exec, s[4:5]
	s_cbranch_vccnz .LBB2_3
; %bb.5:                                ;   in Loop: Header=BB2_4 Depth=1
	v_lshl_add_u32 v17, s3, 5, v9
	v_ashrrev_i32_e32 v4, 31, v17
	v_mul_lo_u32 v6, s30, v4
	v_mul_lo_u32 v7, s31, v17
	v_mad_u64_u32 v[4:5], s[12:13], s30, v17, 0
	v_cmp_gt_i32_e32 vcc, s38, v17
	v_add3_u32 v5, v5, v6, v7
	s_and_b64 s[10:11], s[0:1], vcc
	v_lshl_add_u64 v[4:5], v[4:5], 2, v[2:3]
	s_mov_b32 s2, 0
	s_branch .LBB2_7
.LBB2_6:                                ;   in Loop: Header=BB2_7 Depth=2
	s_or_b64 exec, exec, s[12:13]
	s_add_i32 s2, s2, 32
	s_cmp_ge_i32 s2, s38
	s_barrier
	s_cbranch_scc1 .LBB2_3
.LBB2_7:                                ;   Parent Loop BB2_4 Depth=1
                                        ; =>  This Inner Loop Header: Depth=2
	v_add_u32_e32 v6, s2, v9
	v_cmp_gt_i32_e32 vcc, s38, v6
	s_and_b64 s[18:19], s[0:1], vcc
	v_mov_b32_e32 v7, 0
	v_mov_b32_e32 v18, 0
	s_and_saveexec_b64 s[12:13], s[18:19]
	s_cbranch_execz .LBB2_9
; %bb.8:                                ;   in Loop: Header=BB2_7 Depth=2
	v_ashrrev_i32_e32 v18, 31, v6
	v_mul_lo_u32 v20, s23, v6
	v_mul_lo_u32 v21, s22, v18
	v_mad_u64_u32 v[18:19], s[18:19], s22, v6, 0
	v_add3_u32 v19, v19, v21, v20
	v_lshl_add_u64 v[18:19], v[18:19], 2, v[0:1]
	global_load_dword v18, v[18:19], off
.LBB2_9:                                ;   in Loop: Header=BB2_7 Depth=2
	s_or_b64 exec, exec, s[12:13]
	s_waitcnt vmcnt(0)
	ds_write_b32 v11, v18
	v_add_u32_e32 v18, s2, v8
	v_cndmask_b32_e64 v6, v17, v18, s[6:7]
	v_cndmask_b32_e64 v19, v18, v17, s[6:7]
	v_cmp_gt_i32_e32 vcc, v6, v19
	s_nop 1
	v_cndmask_b32_e32 v6, v18, v17, vcc
	v_cndmask_b32_e32 v18, v17, v18, vcc
	v_max_i32_e32 v19, v6, v18
	v_cmp_gt_i32_e32 vcc, s38, v19
	s_and_saveexec_b64 s[12:13], vcc
	s_cbranch_execz .LBB2_11
; %bb.10:                               ;   in Loop: Header=BB2_7 Depth=2
	v_ashrrev_i32_e32 v7, 31, v18
	v_mul_lo_u32 v20, s15, v18
	v_mul_lo_u32 v7, s14, v7
	v_mad_u64_u32 v[18:19], s[18:19], s14, v18, 0
	v_add3_u32 v19, v19, v7, v20
	v_ashrrev_i32_e32 v7, 31, v6
	v_lshl_add_u64 v[18:19], v[18:19], 2, s[8:9]
	v_lshl_add_u64 v[6:7], v[6:7], 2, v[18:19]
	global_load_dword v7, v[6:7], off
.LBB2_11:                               ;   in Loop: Header=BB2_7 Depth=2
	s_or_b64 exec, exec, s[12:13]
	s_waitcnt vmcnt(0)
	ds_write_b32 v13, v7
	s_waitcnt lgkmcnt(0)
	s_barrier
	s_and_saveexec_b64 s[12:13], s[10:11]
	s_cbranch_execz .LBB2_6
; %bb.12:                               ;   in Loop: Header=BB2_7 Depth=2
	global_load_dword v38, v[4:5], off
	ds_read2_b32 v[6:7], v12 offset1:32
	ds_read_b128 v[18:21], v10
	ds_read_b128 v[22:25], v10 offset:16
	ds_read2_b32 v[34:35], v12 offset0:64 offset1:96
	ds_read_b128 v[26:29], v10 offset:32
	ds_read_b128 v[30:33], v10 offset:48
	ds_read2_b32 v[36:37], v12 offset0:128 offset1:160
	s_waitcnt lgkmcnt(5)
	v_fma_f32 v39, v18, v6, 0
	v_fmac_f32_e32 v39, v19, v7
	ds_read2_b32 v[6:7], v12 offset0:192 offset1:224
	s_waitcnt lgkmcnt(4)
	v_fmac_f32_e32 v39, v20, v34
	v_fmac_f32_e32 v39, v21, v35
	ds_read2_b32 v[18:19], v14 offset1:32
	s_waitcnt lgkmcnt(2)
	v_fmac_f32_e32 v39, v22, v36
	v_fmac_f32_e32 v39, v23, v37
	ds_read2_b32 v[20:21], v14 offset0:64 offset1:96
	s_waitcnt lgkmcnt(2)
	v_fmac_f32_e32 v39, v24, v6
	v_fmac_f32_e32 v39, v25, v7
	ds_read2_b32 v[6:7], v14 offset0:128 offset1:160
	s_waitcnt lgkmcnt(2)
	v_fmac_f32_e32 v39, v26, v18
	v_fmac_f32_e32 v39, v27, v19
	s_waitcnt lgkmcnt(1)
	v_fmac_f32_e32 v39, v28, v20
	ds_read2_b32 v[22:23], v14 offset0:192 offset1:224
	v_fmac_f32_e32 v39, v29, v21
	s_waitcnt lgkmcnt(1)
	v_fmac_f32_e32 v39, v30, v6
	v_fmac_f32_e32 v39, v31, v7
	ds_read_b128 v[18:21], v10 offset:64
	ds_read2_b32 v[6:7], v15 offset1:32
	s_waitcnt lgkmcnt(2)
	v_fmac_f32_e32 v39, v32, v22
	v_fmac_f32_e32 v39, v33, v23
	ds_read2_b32 v[26:27], v15 offset0:64 offset1:96
	ds_read_b128 v[22:25], v10 offset:80
	ds_read2_b32 v[28:29], v15 offset0:128 offset1:160
	s_waitcnt lgkmcnt(3)
	v_fmac_f32_e32 v39, v18, v6
	v_fmac_f32_e32 v39, v19, v7
	ds_read2_b32 v[6:7], v15 offset0:192 offset1:224
	s_waitcnt lgkmcnt(3)
	v_fmac_f32_e32 v39, v20, v26
	v_fmac_f32_e32 v39, v21, v27
	ds_read2_b32 v[26:27], v16 offset1:32
	ds_read_b128 v[18:21], v10 offset:96
	s_waitcnt lgkmcnt(3)
	v_fmac_f32_e32 v39, v22, v28
	v_fmac_f32_e32 v39, v23, v29
	s_waitcnt lgkmcnt(2)
	v_pk_mul_f32 v[6:7], v[24:25], v[6:7]
	s_waitcnt lgkmcnt(0)
	v_pk_mul_f32 v[18:19], v[18:19], v[26:27]
	v_add_f32_e32 v6, v39, v6
	v_add_f32_e32 v28, v6, v7
	ds_read2_b32 v[6:7], v16 offset0:64 offset1:96
	ds_read_b128 v[22:25], v10 offset:112
	v_add_f32_e32 v18, v28, v18
	v_add_f32_e32 v26, v18, v19
	ds_read2_b32 v[18:19], v16 offset0:128 offset1:160
	s_waitcnt lgkmcnt(2)
	v_pk_mul_f32 v[6:7], v[20:21], v[6:7]
	ds_read2_b32 v[20:21], v16 offset0:192 offset1:224
	v_add_f32_e32 v6, v26, v6
	v_add_f32_e32 v26, v6, v7
	s_waitcnt lgkmcnt(1)
	v_pk_mul_f32 v[6:7], v[22:23], v[18:19]
	s_nop 0
	v_add_f32_e32 v6, v26, v6
	v_add_f32_e32 v18, v6, v7
	s_waitcnt lgkmcnt(0)
	v_pk_mul_f32 v[6:7], v[24:25], v[20:21]
	s_nop 0
	v_add_f32_e32 v6, v18, v6
	v_add_f32_e32 v6, v6, v7
	s_waitcnt vmcnt(0)
	v_fmac_f32_e32 v38, s33, v6
	global_store_dword v[4:5], v38, off
	s_branch .LBB2_6
.LBB2_13:
	s_endpgm
	.section	.rodata,"a",@progbits
	.p2align	6, 0x0
	.amdhsa_kernel _ZL24rocblas_symm_hemm_kernelILb0ELb1ELi32EPKfS1_PfEvbiiT2_T3_lllS4_lllT4_llli
		.amdhsa_group_segment_fixed_size 8192
		.amdhsa_private_segment_fixed_size 0
		.amdhsa_kernarg_size 384
		.amdhsa_user_sgpr_count 2
		.amdhsa_user_sgpr_dispatch_ptr 0
		.amdhsa_user_sgpr_queue_ptr 0
		.amdhsa_user_sgpr_kernarg_segment_ptr 1
		.amdhsa_user_sgpr_dispatch_id 0
		.amdhsa_user_sgpr_kernarg_preload_length 0
		.amdhsa_user_sgpr_kernarg_preload_offset 0
		.amdhsa_user_sgpr_private_segment_size 0
		.amdhsa_uses_dynamic_stack 0
		.amdhsa_enable_private_segment 0
		.amdhsa_system_sgpr_workgroup_id_x 1
		.amdhsa_system_sgpr_workgroup_id_y 1
		.amdhsa_system_sgpr_workgroup_id_z 1
		.amdhsa_system_sgpr_workgroup_info 0
		.amdhsa_system_vgpr_workitem_id 1
		.amdhsa_next_free_vgpr 40
		.amdhsa_next_free_sgpr 40
		.amdhsa_accum_offset 40
		.amdhsa_reserve_vcc 1
		.amdhsa_float_round_mode_32 0
		.amdhsa_float_round_mode_16_64 0
		.amdhsa_float_denorm_mode_32 3
		.amdhsa_float_denorm_mode_16_64 3
		.amdhsa_dx10_clamp 1
		.amdhsa_ieee_mode 1
		.amdhsa_fp16_overflow 0
		.amdhsa_tg_split 0
		.amdhsa_exception_fp_ieee_invalid_op 0
		.amdhsa_exception_fp_denorm_src 0
		.amdhsa_exception_fp_ieee_div_zero 0
		.amdhsa_exception_fp_ieee_overflow 0
		.amdhsa_exception_fp_ieee_underflow 0
		.amdhsa_exception_fp_ieee_inexact 0
		.amdhsa_exception_int_div_zero 0
	.end_amdhsa_kernel
	.section	.text._ZL24rocblas_symm_hemm_kernelILb0ELb1ELi32EPKfS1_PfEvbiiT2_T3_lllS4_lllT4_llli,"axG",@progbits,_ZL24rocblas_symm_hemm_kernelILb0ELb1ELi32EPKfS1_PfEvbiiT2_T3_lllS4_lllT4_llli,comdat
.Lfunc_end2:
	.size	_ZL24rocblas_symm_hemm_kernelILb0ELb1ELi32EPKfS1_PfEvbiiT2_T3_lllS4_lllT4_llli, .Lfunc_end2-_ZL24rocblas_symm_hemm_kernelILb0ELb1ELi32EPKfS1_PfEvbiiT2_T3_lllS4_lllT4_llli
                                        ; -- End function
	.set _ZL24rocblas_symm_hemm_kernelILb0ELb1ELi32EPKfS1_PfEvbiiT2_T3_lllS4_lllT4_llli.num_vgpr, 40
	.set _ZL24rocblas_symm_hemm_kernelILb0ELb1ELi32EPKfS1_PfEvbiiT2_T3_lllS4_lllT4_llli.num_agpr, 0
	.set _ZL24rocblas_symm_hemm_kernelILb0ELb1ELi32EPKfS1_PfEvbiiT2_T3_lllS4_lllT4_llli.numbered_sgpr, 40
	.set _ZL24rocblas_symm_hemm_kernelILb0ELb1ELi32EPKfS1_PfEvbiiT2_T3_lllS4_lllT4_llli.num_named_barrier, 0
	.set _ZL24rocblas_symm_hemm_kernelILb0ELb1ELi32EPKfS1_PfEvbiiT2_T3_lllS4_lllT4_llli.private_seg_size, 0
	.set _ZL24rocblas_symm_hemm_kernelILb0ELb1ELi32EPKfS1_PfEvbiiT2_T3_lllS4_lllT4_llli.uses_vcc, 1
	.set _ZL24rocblas_symm_hemm_kernelILb0ELb1ELi32EPKfS1_PfEvbiiT2_T3_lllS4_lllT4_llli.uses_flat_scratch, 0
	.set _ZL24rocblas_symm_hemm_kernelILb0ELb1ELi32EPKfS1_PfEvbiiT2_T3_lllS4_lllT4_llli.has_dyn_sized_stack, 0
	.set _ZL24rocblas_symm_hemm_kernelILb0ELb1ELi32EPKfS1_PfEvbiiT2_T3_lllS4_lllT4_llli.has_recursion, 0
	.set _ZL24rocblas_symm_hemm_kernelILb0ELb1ELi32EPKfS1_PfEvbiiT2_T3_lllS4_lllT4_llli.has_indirect_call, 0
	.section	.AMDGPU.csdata,"",@progbits
; Kernel info:
; codeLenInByte = 1192
; TotalNumSgprs: 46
; NumVgprs: 40
; NumAgprs: 0
; TotalNumVgprs: 40
; ScratchSize: 0
; MemoryBound: 0
; FloatMode: 240
; IeeeMode: 1
; LDSByteSize: 8192 bytes/workgroup (compile time only)
; SGPRBlocks: 5
; VGPRBlocks: 4
; NumSGPRsForWavesPerEU: 46
; NumVGPRsForWavesPerEU: 40
; AccumOffset: 40
; Occupancy: 8
; WaveLimiterHint : 0
; COMPUTE_PGM_RSRC2:SCRATCH_EN: 0
; COMPUTE_PGM_RSRC2:USER_SGPR: 2
; COMPUTE_PGM_RSRC2:TRAP_HANDLER: 0
; COMPUTE_PGM_RSRC2:TGID_X_EN: 1
; COMPUTE_PGM_RSRC2:TGID_Y_EN: 1
; COMPUTE_PGM_RSRC2:TGID_Z_EN: 1
; COMPUTE_PGM_RSRC2:TIDIG_COMP_CNT: 1
; COMPUTE_PGM_RSRC3_GFX90A:ACCUM_OFFSET: 9
; COMPUTE_PGM_RSRC3_GFX90A:TG_SPLIT: 0
	.section	.text._ZL25rocblas_symm_scale_kernelILi128ELi8EfPfEviiT1_T2_llli,"axG",@progbits,_ZL25rocblas_symm_scale_kernelILi128ELi8EfPfEviiT1_T2_llli,comdat
	.globl	_ZL25rocblas_symm_scale_kernelILi128ELi8EfPfEviiT1_T2_llli ; -- Begin function _ZL25rocblas_symm_scale_kernelILi128ELi8EfPfEviiT1_T2_llli
	.p2align	8
	.type	_ZL25rocblas_symm_scale_kernelILi128ELi8EfPfEviiT1_T2_llli,@function
_ZL25rocblas_symm_scale_kernelILi128ELi8EfPfEviiT1_T2_llli: ; @_ZL25rocblas_symm_scale_kernelILi128ELi8EfPfEviiT1_T2_llli
; %bb.0:
	s_load_dwordx4 s[8:11], s[0:1], 0x0
	s_waitcnt lgkmcnt(0)
	v_cmp_eq_f32_e64 s[6:7], s10, 1.0
	s_and_b64 vcc, exec, s[6:7]
	s_cbranch_vccnz .LBB3_7
; %bb.1:
	v_and_b32_e32 v1, 0x3ff, v0
	v_bfe_u32 v0, v0, 10, 10
	v_lshl_add_u32 v2, s2, 7, v1
	v_lshl_add_u32 v0, s3, 3, v0
	v_mov_b32_e32 v1, 0
	s_ashr_i32 s7, s9, 31
	s_mov_b32 s6, s9
	v_cmp_gt_u32_e32 vcc, s8, v2
	v_cmp_gt_i64_e64 s[2:3], s[6:7], v[0:1]
	s_and_b64 s[2:3], vcc, s[2:3]
	s_and_saveexec_b64 s[8:9], s[2:3]
	s_cbranch_execz .LBB3_7
; %bb.2:
	s_load_dword s2, s[0:1], 0x3c
	s_load_dwordx8 s[12:19], s[0:1], 0x10
	v_mov_b32_e32 v3, v1
	s_mov_b32 s3, 0
	s_mov_b64 s[8:9], 0
	s_waitcnt lgkmcnt(0)
	s_lshl_b32 s2, s2, 3
	s_mul_i32 s0, s19, s4
	s_mul_hi_u32 s1, s18, s4
	s_add_i32 s1, s1, s0
	s_mul_i32 s0, s18, s4
	v_mad_u64_u32 v[4:5], s[4:5], s16, v0, 0
	v_mov_b32_e32 v6, v5
	v_mad_u64_u32 v[6:7], s[4:5], s17, v0, v[6:7]
	s_lshl_b64 s[0:1], s[0:1], 2
	s_lshl_b64 s[4:5], s[14:15], 2
	s_add_u32 s0, s4, s0
	v_mov_b32_e32 v5, v6
	s_addc_u32 s1, s5, s1
	v_lshl_add_u64 v[4:5], v[4:5], 2, s[0:1]
	s_mul_i32 s0, s17, s2
	s_mul_hi_u32 s1, s16, s2
	s_add_i32 s1, s1, s0
	s_mul_i32 s0, s16, s2
	s_lshl_b64 s[4:5], s[0:1], 2
	v_cmp_neq_f32_e64 s[0:1], s10, 0
	v_lshl_add_u64 v[2:3], v[2:3], 2, v[4:5]
	v_lshl_add_u64 v[2:3], s[12:13], 0, v[2:3]
	v_cndmask_b32_e64 v4, 0, 1, s[0:1]
	v_cmp_ne_u32_e64 s[0:1], 1, v4
	s_branch .LBB3_5
.LBB3_3:                                ;   in Loop: Header=BB3_5 Depth=1
	global_load_dword v4, v[2:3], off
	s_waitcnt vmcnt(0)
	v_mul_f32_e32 v4, s10, v4
.LBB3_4:                                ;   in Loop: Header=BB3_5 Depth=1
	v_lshl_add_u64 v[0:1], v[0:1], 0, s[2:3]
	v_cmp_le_i64_e32 vcc, s[6:7], v[0:1]
	global_store_dword v[2:3], v4, off
	s_or_b64 s[8:9], vcc, s[8:9]
	v_lshl_add_u64 v[2:3], v[2:3], 0, s[4:5]
	s_andn2_b64 exec, exec, s[8:9]
	s_cbranch_execz .LBB3_7
.LBB3_5:                                ; =>This Inner Loop Header: Depth=1
	s_and_b64 vcc, exec, s[0:1]
	s_cbranch_vccz .LBB3_3
; %bb.6:                                ;   in Loop: Header=BB3_5 Depth=1
	v_mov_b32_e32 v4, 0
	s_branch .LBB3_4
.LBB3_7:
	s_endpgm
	.section	.rodata,"a",@progbits
	.p2align	6, 0x0
	.amdhsa_kernel _ZL25rocblas_symm_scale_kernelILi128ELi8EfPfEviiT1_T2_llli
		.amdhsa_group_segment_fixed_size 0
		.amdhsa_private_segment_fixed_size 0
		.amdhsa_kernarg_size 312
		.amdhsa_user_sgpr_count 2
		.amdhsa_user_sgpr_dispatch_ptr 0
		.amdhsa_user_sgpr_queue_ptr 0
		.amdhsa_user_sgpr_kernarg_segment_ptr 1
		.amdhsa_user_sgpr_dispatch_id 0
		.amdhsa_user_sgpr_kernarg_preload_length 0
		.amdhsa_user_sgpr_kernarg_preload_offset 0
		.amdhsa_user_sgpr_private_segment_size 0
		.amdhsa_uses_dynamic_stack 0
		.amdhsa_enable_private_segment 0
		.amdhsa_system_sgpr_workgroup_id_x 1
		.amdhsa_system_sgpr_workgroup_id_y 1
		.amdhsa_system_sgpr_workgroup_id_z 1
		.amdhsa_system_sgpr_workgroup_info 0
		.amdhsa_system_vgpr_workitem_id 1
		.amdhsa_next_free_vgpr 8
		.amdhsa_next_free_sgpr 20
		.amdhsa_accum_offset 8
		.amdhsa_reserve_vcc 1
		.amdhsa_float_round_mode_32 0
		.amdhsa_float_round_mode_16_64 0
		.amdhsa_float_denorm_mode_32 3
		.amdhsa_float_denorm_mode_16_64 3
		.amdhsa_dx10_clamp 1
		.amdhsa_ieee_mode 1
		.amdhsa_fp16_overflow 0
		.amdhsa_tg_split 0
		.amdhsa_exception_fp_ieee_invalid_op 0
		.amdhsa_exception_fp_denorm_src 0
		.amdhsa_exception_fp_ieee_div_zero 0
		.amdhsa_exception_fp_ieee_overflow 0
		.amdhsa_exception_fp_ieee_underflow 0
		.amdhsa_exception_fp_ieee_inexact 0
		.amdhsa_exception_int_div_zero 0
	.end_amdhsa_kernel
	.section	.text._ZL25rocblas_symm_scale_kernelILi128ELi8EfPfEviiT1_T2_llli,"axG",@progbits,_ZL25rocblas_symm_scale_kernelILi128ELi8EfPfEviiT1_T2_llli,comdat
.Lfunc_end3:
	.size	_ZL25rocblas_symm_scale_kernelILi128ELi8EfPfEviiT1_T2_llli, .Lfunc_end3-_ZL25rocblas_symm_scale_kernelILi128ELi8EfPfEviiT1_T2_llli
                                        ; -- End function
	.set _ZL25rocblas_symm_scale_kernelILi128ELi8EfPfEviiT1_T2_llli.num_vgpr, 8
	.set _ZL25rocblas_symm_scale_kernelILi128ELi8EfPfEviiT1_T2_llli.num_agpr, 0
	.set _ZL25rocblas_symm_scale_kernelILi128ELi8EfPfEviiT1_T2_llli.numbered_sgpr, 20
	.set _ZL25rocblas_symm_scale_kernelILi128ELi8EfPfEviiT1_T2_llli.num_named_barrier, 0
	.set _ZL25rocblas_symm_scale_kernelILi128ELi8EfPfEviiT1_T2_llli.private_seg_size, 0
	.set _ZL25rocblas_symm_scale_kernelILi128ELi8EfPfEviiT1_T2_llli.uses_vcc, 1
	.set _ZL25rocblas_symm_scale_kernelILi128ELi8EfPfEviiT1_T2_llli.uses_flat_scratch, 0
	.set _ZL25rocblas_symm_scale_kernelILi128ELi8EfPfEviiT1_T2_llli.has_dyn_sized_stack, 0
	.set _ZL25rocblas_symm_scale_kernelILi128ELi8EfPfEviiT1_T2_llli.has_recursion, 0
	.set _ZL25rocblas_symm_scale_kernelILi128ELi8EfPfEviiT1_T2_llli.has_indirect_call, 0
	.section	.AMDGPU.csdata,"",@progbits
; Kernel info:
; codeLenInByte = 336
; TotalNumSgprs: 26
; NumVgprs: 8
; NumAgprs: 0
; TotalNumVgprs: 8
; ScratchSize: 0
; MemoryBound: 0
; FloatMode: 240
; IeeeMode: 1
; LDSByteSize: 0 bytes/workgroup (compile time only)
; SGPRBlocks: 3
; VGPRBlocks: 0
; NumSGPRsForWavesPerEU: 26
; NumVGPRsForWavesPerEU: 8
; AccumOffset: 8
; Occupancy: 8
; WaveLimiterHint : 0
; COMPUTE_PGM_RSRC2:SCRATCH_EN: 0
; COMPUTE_PGM_RSRC2:USER_SGPR: 2
; COMPUTE_PGM_RSRC2:TRAP_HANDLER: 0
; COMPUTE_PGM_RSRC2:TGID_X_EN: 1
; COMPUTE_PGM_RSRC2:TGID_Y_EN: 1
; COMPUTE_PGM_RSRC2:TGID_Z_EN: 1
; COMPUTE_PGM_RSRC2:TIDIG_COMP_CNT: 1
; COMPUTE_PGM_RSRC3_GFX90A:ACCUM_OFFSET: 1
; COMPUTE_PGM_RSRC3_GFX90A:TG_SPLIT: 0
	.section	.text._ZL24rocblas_symm_hemm_kernelILb0ELb0ELi32EfPKfPfEvbiiT2_T3_lllS4_lllT4_llli,"axG",@progbits,_ZL24rocblas_symm_hemm_kernelILb0ELb0ELi32EfPKfPfEvbiiT2_T3_lllS4_lllT4_llli,comdat
	.globl	_ZL24rocblas_symm_hemm_kernelILb0ELb0ELi32EfPKfPfEvbiiT2_T3_lllS4_lllT4_llli ; -- Begin function _ZL24rocblas_symm_hemm_kernelILb0ELb0ELi32EfPKfPfEvbiiT2_T3_lllS4_lllT4_llli
	.p2align	8
	.type	_ZL24rocblas_symm_hemm_kernelILb0ELb0ELi32EfPKfPfEvbiiT2_T3_lllS4_lllT4_llli,@function
_ZL24rocblas_symm_hemm_kernelILb0ELb0ELi32EfPKfPfEvbiiT2_T3_lllS4_lllT4_llli: ; @_ZL24rocblas_symm_hemm_kernelILb0ELb0ELi32EfPKfPfEvbiiT2_T3_lllS4_lllT4_llli
; %bb.0:
	s_load_dwordx4 s[36:39], s[0:1], 0x0
	s_waitcnt lgkmcnt(0)
	v_cmp_eq_f32_e64 s[6:7], s39, 0
	s_and_b64 vcc, exec, s[6:7]
	s_cbranch_vccnz .LBB4_13
; %bb.1:
	s_add_i32 s5, s38, -1
	s_ashr_i32 s6, s5, 31
	s_lshr_b32 s6, s6, 27
	s_add_i32 s5, s5, s6
	s_ashr_i32 s33, s5, 5
	s_cmp_gt_i32 s3, s33
	s_cbranch_scc1 .LBB4_13
; %bb.2:
	s_load_dwordx16 s[8:23], s[0:1], 0x10
	s_load_dwordx8 s[24:31], s[0:1], 0x50
	v_and_b32_e32 v10, 0x3ff, v0
	v_lshl_add_u32 v2, s2, 5, v10
	s_load_dword s2, s[0:1], 0x7c
	s_waitcnt lgkmcnt(0)
	s_mul_i32 s5, s15, s4
	s_mul_hi_u32 s7, s14, s4
	s_mul_i32 s6, s14, s4
	s_add_i32 s7, s7, s5
	s_lshl_b64 s[6:7], s[6:7], 2
	s_add_u32 s5, s8, s6
	s_addc_u32 s8, s9, s7
	s_lshl_b64 s[6:7], s[10:11], 2
	s_mul_i32 s14, s23, s4
	s_add_u32 s10, s5, s6
	s_mul_hi_u32 s5, s22, s4
	s_addc_u32 s11, s8, s7
	s_add_i32 s7, s5, s14
	s_mul_i32 s6, s22, s4
	s_lshl_b64 s[6:7], s[6:7], 2
	s_add_u32 s5, s16, s6
	s_addc_u32 s8, s17, s7
	s_lshl_b64 s[6:7], s[18:19], 2
	s_add_u32 s14, s5, s6
	s_addc_u32 s15, s8, s7
	s_bitcmp1_b32 s36, 0
	s_mul_i32 s5, s31, s4
	s_mul_hi_u32 s8, s30, s4
	s_cselect_b64 s[6:7], -1, 0
	s_add_i32 s5, s8, s5
	s_mul_i32 s4, s30, s4
	s_lshl_b64 s[4:5], s[4:5], 2
	s_add_u32 s8, s24, s4
	s_addc_u32 s9, s25, s5
	s_lshl_b64 s[4:5], s[26:27], 2
	s_add_u32 s4, s8, s4
	s_addc_u32 s5, s9, s5
	v_bfe_u32 v11, v0, 10, 10
	s_cmp_gt_i32 s37, 0
	v_lshlrev_b32_e32 v12, 7, v10
	v_lshlrev_b32_e32 v0, 2, v11
	v_ashrrev_i32_e32 v3, 31, v2
	s_cselect_b64 s[0:1], -1, 0
	v_add_u32_e32 v13, v12, v0
	v_or_b32_e32 v14, 0x1000, v0
	v_lshl_add_u64 v[0:1], v[2:3], 2, s[4:5]
	v_cndmask_b32_e64 v3, 0, 1, s[0:1]
	v_add_u32_e32 v15, v14, v12
	v_cmp_gt_i32_e64 s[8:9], s37, v2
	v_cmp_ne_u32_e64 s[4:5], 1, v3
	v_add_u32_e32 v3, 0x400, v14
	v_add_u32_e32 v16, 0x800, v14
	;; [unrolled: 1-line block ×3, first 2 shown]
	s_branch .LBB4_4
.LBB4_3:                                ;   in Loop: Header=BB4_4 Depth=1
	s_add_i32 s3, s3, s2
	s_cmp_gt_i32 s3, s33
	s_cbranch_scc1 .LBB4_13
.LBB4_4:                                ; =>This Loop Header: Depth=1
                                        ;     Child Loop BB4_7 Depth 2
	s_and_b64 vcc, exec, s[4:5]
	s_cbranch_vccnz .LBB4_3
; %bb.5:                                ;   in Loop: Header=BB4_4 Depth=1
	v_lshl_add_u32 v6, s3, 5, v11
	v_ashrrev_i32_e32 v7, 31, v6
	v_mul_lo_u32 v8, s20, v7
	v_mul_lo_u32 v9, s21, v6
	v_mad_u64_u32 v[4:5], s[0:1], s20, v6, 0
	v_cmp_gt_i32_e32 vcc, s38, v6
	v_add3_u32 v5, v5, v8, v9
	v_mul_lo_u32 v8, s28, v7
	v_mul_lo_u32 v9, s29, v6
	v_mad_u64_u32 v[6:7], s[0:1], s28, v6, 0
	v_add3_u32 v7, v7, v8, v9
	v_lshl_add_u64 v[4:5], v[4:5], 2, s[14:15]
	s_and_b64 s[16:17], s[8:9], vcc
	v_lshl_add_u64 v[6:7], v[6:7], 2, v[0:1]
	s_mov_b32 s22, 0
	s_branch .LBB4_7
.LBB4_6:                                ;   in Loop: Header=BB4_7 Depth=2
	s_or_b64 exec, exec, s[0:1]
	s_add_i32 s22, s22, 32
	s_cmp_ge_i32 s22, s37
	s_barrier
	s_cbranch_scc1 .LBB4_3
.LBB4_7:                                ;   Parent Loop BB4_4 Depth=1
                                        ; =>  This Inner Loop Header: Depth=2
	v_add_u32_e32 v9, s22, v11
	v_cndmask_b32_e64 v8, v9, v2, s[6:7]
	v_cndmask_b32_e64 v18, v2, v9, s[6:7]
	v_cmp_gt_i32_e64 s[0:1], v8, v18
	v_mov_b32_e32 v19, 0
	s_nop 0
	v_cndmask_b32_e64 v8, v2, v9, s[0:1]
	v_cndmask_b32_e64 v9, v9, v2, s[0:1]
	v_max_i32_e32 v18, v8, v9
	v_cmp_gt_i32_e64 s[0:1], s37, v18
	v_mov_b32_e32 v18, 0
	s_and_saveexec_b64 s[18:19], s[0:1]
	s_cbranch_execz .LBB4_9
; %bb.8:                                ;   in Loop: Header=BB4_7 Depth=2
	v_ashrrev_i32_e32 v19, 31, v9
	v_mul_lo_u32 v22, s13, v9
	v_mul_lo_u32 v19, s12, v19
	v_mad_u64_u32 v[20:21], s[0:1], s12, v9, 0
	v_add3_u32 v21, v21, v19, v22
	v_ashrrev_i32_e32 v9, 31, v8
	v_lshl_add_u64 v[20:21], v[20:21], 2, s[10:11]
	v_lshl_add_u64 v[8:9], v[8:9], 2, v[20:21]
	global_load_dword v19, v[8:9], off
.LBB4_9:                                ;   in Loop: Header=BB4_7 Depth=2
	s_or_b64 exec, exec, s[18:19]
	v_add_u32_e32 v8, s22, v10
	v_cmp_gt_i32_e64 s[0:1], s37, v8
	s_and_b64 s[18:19], s[0:1], vcc
	s_waitcnt vmcnt(0)
	ds_write_b32 v13, v19
	s_and_saveexec_b64 s[0:1], s[18:19]
	s_cbranch_execz .LBB4_11
; %bb.10:                               ;   in Loop: Header=BB4_7 Depth=2
	v_ashrrev_i32_e32 v9, 31, v8
	v_lshl_add_u64 v[8:9], v[8:9], 2, v[4:5]
	global_load_dword v18, v[8:9], off
.LBB4_11:                               ;   in Loop: Header=BB4_7 Depth=2
	s_or_b64 exec, exec, s[0:1]
	s_waitcnt vmcnt(0)
	ds_write_b32 v15, v18
	s_waitcnt lgkmcnt(0)
	s_barrier
	s_and_saveexec_b64 s[0:1], s[16:17]
	s_cbranch_execz .LBB4_6
; %bb.12:                               ;   in Loop: Header=BB4_7 Depth=2
	global_load_dword v38, v[6:7], off
	ds_read2_b32 v[8:9], v14 offset1:32
	ds_read_b128 v[18:21], v12
	ds_read_b128 v[22:25], v12 offset:16
	ds_read2_b32 v[34:35], v14 offset0:64 offset1:96
	ds_read_b128 v[26:29], v12 offset:32
	ds_read_b128 v[30:33], v12 offset:48
	ds_read2_b32 v[36:37], v14 offset0:128 offset1:160
	s_waitcnt lgkmcnt(5)
	v_fma_f32 v39, v18, v8, 0
	v_fmac_f32_e32 v39, v19, v9
	ds_read2_b32 v[8:9], v14 offset0:192 offset1:224
	s_waitcnt lgkmcnt(4)
	v_fmac_f32_e32 v39, v20, v34
	v_fmac_f32_e32 v39, v21, v35
	ds_read2_b32 v[18:19], v3 offset1:32
	s_waitcnt lgkmcnt(2)
	v_fmac_f32_e32 v39, v22, v36
	v_fmac_f32_e32 v39, v23, v37
	ds_read2_b32 v[20:21], v3 offset0:64 offset1:96
	s_waitcnt lgkmcnt(2)
	v_fmac_f32_e32 v39, v24, v8
	v_fmac_f32_e32 v39, v25, v9
	ds_read2_b32 v[8:9], v3 offset0:128 offset1:160
	s_waitcnt lgkmcnt(2)
	v_fmac_f32_e32 v39, v26, v18
	v_fmac_f32_e32 v39, v27, v19
	s_waitcnt lgkmcnt(1)
	v_fmac_f32_e32 v39, v28, v20
	ds_read2_b32 v[22:23], v3 offset0:192 offset1:224
	v_fmac_f32_e32 v39, v29, v21
	s_waitcnt lgkmcnt(1)
	v_fmac_f32_e32 v39, v30, v8
	v_fmac_f32_e32 v39, v31, v9
	ds_read_b128 v[18:21], v12 offset:64
	ds_read2_b32 v[8:9], v16 offset1:32
	s_waitcnt lgkmcnt(2)
	v_fmac_f32_e32 v39, v32, v22
	v_fmac_f32_e32 v39, v33, v23
	ds_read2_b32 v[26:27], v16 offset0:64 offset1:96
	ds_read_b128 v[22:25], v12 offset:80
	ds_read2_b32 v[28:29], v16 offset0:128 offset1:160
	s_waitcnt lgkmcnt(3)
	v_fmac_f32_e32 v39, v18, v8
	v_fmac_f32_e32 v39, v19, v9
	ds_read2_b32 v[8:9], v16 offset0:192 offset1:224
	s_waitcnt lgkmcnt(3)
	v_fmac_f32_e32 v39, v20, v26
	v_fmac_f32_e32 v39, v21, v27
	ds_read2_b32 v[26:27], v17 offset1:32
	ds_read_b128 v[18:21], v12 offset:96
	s_waitcnt lgkmcnt(3)
	v_fmac_f32_e32 v39, v22, v28
	v_fmac_f32_e32 v39, v23, v29
	s_waitcnt lgkmcnt(2)
	v_pk_mul_f32 v[8:9], v[24:25], v[8:9]
	s_waitcnt lgkmcnt(0)
	v_pk_mul_f32 v[18:19], v[18:19], v[26:27]
	v_add_f32_e32 v8, v39, v8
	v_add_f32_e32 v28, v8, v9
	ds_read2_b32 v[8:9], v17 offset0:64 offset1:96
	ds_read_b128 v[22:25], v12 offset:112
	v_add_f32_e32 v18, v28, v18
	v_add_f32_e32 v26, v18, v19
	ds_read2_b32 v[18:19], v17 offset0:128 offset1:160
	s_waitcnt lgkmcnt(2)
	v_pk_mul_f32 v[8:9], v[20:21], v[8:9]
	ds_read2_b32 v[20:21], v17 offset0:192 offset1:224
	v_add_f32_e32 v8, v26, v8
	v_add_f32_e32 v26, v8, v9
	s_waitcnt lgkmcnt(1)
	v_pk_mul_f32 v[8:9], v[22:23], v[18:19]
	s_nop 0
	v_add_f32_e32 v8, v26, v8
	v_add_f32_e32 v18, v8, v9
	s_waitcnt lgkmcnt(0)
	v_pk_mul_f32 v[8:9], v[24:25], v[20:21]
	s_nop 0
	v_add_f32_e32 v8, v18, v8
	v_add_f32_e32 v8, v8, v9
	s_waitcnt vmcnt(0)
	v_fmac_f32_e32 v38, s39, v8
	global_store_dword v[6:7], v38, off
	s_branch .LBB4_6
.LBB4_13:
	s_endpgm
	.section	.rodata,"a",@progbits
	.p2align	6, 0x0
	.amdhsa_kernel _ZL24rocblas_symm_hemm_kernelILb0ELb0ELi32EfPKfPfEvbiiT2_T3_lllS4_lllT4_llli
		.amdhsa_group_segment_fixed_size 8192
		.amdhsa_private_segment_fixed_size 0
		.amdhsa_kernarg_size 376
		.amdhsa_user_sgpr_count 2
		.amdhsa_user_sgpr_dispatch_ptr 0
		.amdhsa_user_sgpr_queue_ptr 0
		.amdhsa_user_sgpr_kernarg_segment_ptr 1
		.amdhsa_user_sgpr_dispatch_id 0
		.amdhsa_user_sgpr_kernarg_preload_length 0
		.amdhsa_user_sgpr_kernarg_preload_offset 0
		.amdhsa_user_sgpr_private_segment_size 0
		.amdhsa_uses_dynamic_stack 0
		.amdhsa_enable_private_segment 0
		.amdhsa_system_sgpr_workgroup_id_x 1
		.amdhsa_system_sgpr_workgroup_id_y 1
		.amdhsa_system_sgpr_workgroup_id_z 1
		.amdhsa_system_sgpr_workgroup_info 0
		.amdhsa_system_vgpr_workitem_id 1
		.amdhsa_next_free_vgpr 40
		.amdhsa_next_free_sgpr 40
		.amdhsa_accum_offset 40
		.amdhsa_reserve_vcc 1
		.amdhsa_float_round_mode_32 0
		.amdhsa_float_round_mode_16_64 0
		.amdhsa_float_denorm_mode_32 3
		.amdhsa_float_denorm_mode_16_64 3
		.amdhsa_dx10_clamp 1
		.amdhsa_ieee_mode 1
		.amdhsa_fp16_overflow 0
		.amdhsa_tg_split 0
		.amdhsa_exception_fp_ieee_invalid_op 0
		.amdhsa_exception_fp_denorm_src 0
		.amdhsa_exception_fp_ieee_div_zero 0
		.amdhsa_exception_fp_ieee_overflow 0
		.amdhsa_exception_fp_ieee_underflow 0
		.amdhsa_exception_fp_ieee_inexact 0
		.amdhsa_exception_int_div_zero 0
	.end_amdhsa_kernel
	.section	.text._ZL24rocblas_symm_hemm_kernelILb0ELb0ELi32EfPKfPfEvbiiT2_T3_lllS4_lllT4_llli,"axG",@progbits,_ZL24rocblas_symm_hemm_kernelILb0ELb0ELi32EfPKfPfEvbiiT2_T3_lllS4_lllT4_llli,comdat
.Lfunc_end4:
	.size	_ZL24rocblas_symm_hemm_kernelILb0ELb0ELi32EfPKfPfEvbiiT2_T3_lllS4_lllT4_llli, .Lfunc_end4-_ZL24rocblas_symm_hemm_kernelILb0ELb0ELi32EfPKfPfEvbiiT2_T3_lllS4_lllT4_llli
                                        ; -- End function
	.set _ZL24rocblas_symm_hemm_kernelILb0ELb0ELi32EfPKfPfEvbiiT2_T3_lllS4_lllT4_llli.num_vgpr, 40
	.set _ZL24rocblas_symm_hemm_kernelILb0ELb0ELi32EfPKfPfEvbiiT2_T3_lllS4_lllT4_llli.num_agpr, 0
	.set _ZL24rocblas_symm_hemm_kernelILb0ELb0ELi32EfPKfPfEvbiiT2_T3_lllS4_lllT4_llli.numbered_sgpr, 40
	.set _ZL24rocblas_symm_hemm_kernelILb0ELb0ELi32EfPKfPfEvbiiT2_T3_lllS4_lllT4_llli.num_named_barrier, 0
	.set _ZL24rocblas_symm_hemm_kernelILb0ELb0ELi32EfPKfPfEvbiiT2_T3_lllS4_lllT4_llli.private_seg_size, 0
	.set _ZL24rocblas_symm_hemm_kernelILb0ELb0ELi32EfPKfPfEvbiiT2_T3_lllS4_lllT4_llli.uses_vcc, 1
	.set _ZL24rocblas_symm_hemm_kernelILb0ELb0ELi32EfPKfPfEvbiiT2_T3_lllS4_lllT4_llli.uses_flat_scratch, 0
	.set _ZL24rocblas_symm_hemm_kernelILb0ELb0ELi32EfPKfPfEvbiiT2_T3_lllS4_lllT4_llli.has_dyn_sized_stack, 0
	.set _ZL24rocblas_symm_hemm_kernelILb0ELb0ELi32EfPKfPfEvbiiT2_T3_lllS4_lllT4_llli.has_recursion, 0
	.set _ZL24rocblas_symm_hemm_kernelILb0ELb0ELi32EfPKfPfEvbiiT2_T3_lllS4_lllT4_llli.has_indirect_call, 0
	.section	.AMDGPU.csdata,"",@progbits
; Kernel info:
; codeLenInByte = 1180
; TotalNumSgprs: 46
; NumVgprs: 40
; NumAgprs: 0
; TotalNumVgprs: 40
; ScratchSize: 0
; MemoryBound: 0
; FloatMode: 240
; IeeeMode: 1
; LDSByteSize: 8192 bytes/workgroup (compile time only)
; SGPRBlocks: 5
; VGPRBlocks: 4
; NumSGPRsForWavesPerEU: 46
; NumVGPRsForWavesPerEU: 40
; AccumOffset: 40
; Occupancy: 8
; WaveLimiterHint : 0
; COMPUTE_PGM_RSRC2:SCRATCH_EN: 0
; COMPUTE_PGM_RSRC2:USER_SGPR: 2
; COMPUTE_PGM_RSRC2:TRAP_HANDLER: 0
; COMPUTE_PGM_RSRC2:TGID_X_EN: 1
; COMPUTE_PGM_RSRC2:TGID_Y_EN: 1
; COMPUTE_PGM_RSRC2:TGID_Z_EN: 1
; COMPUTE_PGM_RSRC2:TIDIG_COMP_CNT: 1
; COMPUTE_PGM_RSRC3_GFX90A:ACCUM_OFFSET: 9
; COMPUTE_PGM_RSRC3_GFX90A:TG_SPLIT: 0
	.section	.text._ZL24rocblas_symm_hemm_kernelILb0ELb1ELi32EfPKfPfEvbiiT2_T3_lllS4_lllT4_llli,"axG",@progbits,_ZL24rocblas_symm_hemm_kernelILb0ELb1ELi32EfPKfPfEvbiiT2_T3_lllS4_lllT4_llli,comdat
	.globl	_ZL24rocblas_symm_hemm_kernelILb0ELb1ELi32EfPKfPfEvbiiT2_T3_lllS4_lllT4_llli ; -- Begin function _ZL24rocblas_symm_hemm_kernelILb0ELb1ELi32EfPKfPfEvbiiT2_T3_lllS4_lllT4_llli
	.p2align	8
	.type	_ZL24rocblas_symm_hemm_kernelILb0ELb1ELi32EfPKfPfEvbiiT2_T3_lllS4_lllT4_llli,@function
_ZL24rocblas_symm_hemm_kernelILb0ELb1ELi32EfPKfPfEvbiiT2_T3_lllS4_lllT4_llli: ; @_ZL24rocblas_symm_hemm_kernelILb0ELb1ELi32EfPKfPfEvbiiT2_T3_lllS4_lllT4_llli
; %bb.0:
	s_load_dwordx4 s[36:39], s[0:1], 0x0
	s_waitcnt lgkmcnt(0)
	v_cmp_eq_f32_e64 s[6:7], s39, 0
	s_and_b64 vcc, exec, s[6:7]
	s_cbranch_vccnz .LBB5_13
; %bb.1:
	s_add_i32 s5, s38, -1
	s_ashr_i32 s6, s5, 31
	s_lshr_b32 s6, s6, 27
	s_add_i32 s5, s5, s6
	s_ashr_i32 s33, s5, 5
	s_cmp_gt_i32 s3, s33
	s_cbranch_scc1 .LBB5_13
; %bb.2:
	s_load_dwordx16 s[8:23], s[0:1], 0x10
	s_load_dwordx8 s[24:31], s[0:1], 0x50
	v_and_b32_e32 v8, 0x3ff, v0
	v_lshl_add_u32 v2, s2, 5, v8
	s_load_dword s2, s[0:1], 0x7c
	s_waitcnt lgkmcnt(0)
	s_mul_i32 s5, s15, s4
	s_mul_hi_u32 s7, s14, s4
	s_mul_i32 s6, s14, s4
	s_add_i32 s7, s7, s5
	s_lshl_b64 s[6:7], s[6:7], 2
	s_add_u32 s5, s8, s6
	s_addc_u32 s8, s9, s7
	s_lshl_b64 s[6:7], s[10:11], 2
	s_add_u32 s10, s5, s6
	s_addc_u32 s11, s8, s7
	s_bitcmp1_b32 s36, 0
	s_mul_i32 s5, s31, s4
	s_mul_hi_u32 s8, s30, s4
	s_cselect_b64 s[6:7], -1, 0
	s_add_i32 s9, s8, s5
	s_mul_i32 s8, s30, s4
	s_lshl_b64 s[8:9], s[8:9], 2
	s_add_u32 s5, s24, s8
	s_addc_u32 s15, s25, s9
	s_lshl_b64 s[8:9], s[26:27], 2
	s_add_u32 s14, s5, s8
	s_mul_i32 s5, s23, s4
	s_mul_hi_u32 s8, s22, s4
	s_addc_u32 s15, s15, s9
	s_add_i32 s5, s8, s5
	s_mul_i32 s4, s22, s4
	s_lshl_b64 s[4:5], s[4:5], 2
	s_add_u32 s8, s16, s4
	s_addc_u32 s9, s17, s5
	s_lshl_b64 s[4:5], s[18:19], 2
	s_add_u32 s4, s8, s4
	s_addc_u32 s5, s9, s5
	v_bfe_u32 v9, v0, 10, 10
	s_cmp_gt_i32 s38, 0
	v_ashrrev_i32_e32 v3, 31, v2
	v_lshlrev_b32_e32 v10, 7, v8
	v_lshlrev_b32_e32 v4, 2, v9
	s_cselect_b64 s[0:1], -1, 0
	v_cmp_gt_i32_e64 s[8:9], s37, v2
	v_lshlrev_b64 v[2:3], 2, v[2:3]
	v_add_u32_e32 v11, v10, v4
	v_or_b32_e32 v12, 0x1000, v4
	v_cndmask_b32_e64 v4, 0, 1, s[0:1]
	v_lshl_add_u64 v[0:1], s[4:5], 0, v[2:3]
	v_add_u32_e32 v13, v12, v10
	v_lshl_add_u64 v[2:3], s[14:15], 0, v[2:3]
	v_cmp_ne_u32_e64 s[4:5], 1, v4
	v_add_u32_e32 v14, 0x400, v12
	v_add_u32_e32 v15, 0x800, v12
	;; [unrolled: 1-line block ×3, first 2 shown]
	s_branch .LBB5_4
.LBB5_3:                                ;   in Loop: Header=BB5_4 Depth=1
	s_add_i32 s3, s3, s2
	s_cmp_gt_i32 s3, s33
	s_cbranch_scc1 .LBB5_13
.LBB5_4:                                ; =>This Loop Header: Depth=1
                                        ;     Child Loop BB5_7 Depth 2
	s_and_b64 vcc, exec, s[4:5]
	s_cbranch_vccnz .LBB5_3
; %bb.5:                                ;   in Loop: Header=BB5_4 Depth=1
	v_lshl_add_u32 v17, s3, 5, v9
	v_ashrrev_i32_e32 v4, 31, v17
	v_mul_lo_u32 v6, s28, v4
	v_mul_lo_u32 v7, s29, v17
	v_mad_u64_u32 v[4:5], s[14:15], s28, v17, 0
	v_cmp_gt_i32_e32 vcc, s38, v17
	v_add3_u32 v5, v5, v6, v7
	s_and_b64 s[0:1], s[8:9], vcc
	v_lshl_add_u64 v[4:5], v[4:5], 2, v[2:3]
	s_mov_b32 s16, 0
	s_branch .LBB5_7
.LBB5_6:                                ;   in Loop: Header=BB5_7 Depth=2
	s_or_b64 exec, exec, s[14:15]
	s_add_i32 s16, s16, 32
	s_cmp_ge_i32 s16, s38
	s_barrier
	s_cbranch_scc1 .LBB5_3
.LBB5_7:                                ;   Parent Loop BB5_4 Depth=1
                                        ; =>  This Inner Loop Header: Depth=2
	v_add_u32_e32 v6, s16, v9
	v_cmp_gt_i32_e32 vcc, s38, v6
	s_and_b64 s[18:19], s[8:9], vcc
	v_mov_b32_e32 v7, 0
	v_mov_b32_e32 v18, 0
	s_and_saveexec_b64 s[14:15], s[18:19]
	s_cbranch_execz .LBB5_9
; %bb.8:                                ;   in Loop: Header=BB5_7 Depth=2
	v_ashrrev_i32_e32 v18, 31, v6
	v_mul_lo_u32 v20, s21, v6
	v_mul_lo_u32 v21, s20, v18
	v_mad_u64_u32 v[18:19], s[18:19], s20, v6, 0
	v_add3_u32 v19, v19, v21, v20
	v_lshl_add_u64 v[18:19], v[18:19], 2, v[0:1]
	global_load_dword v18, v[18:19], off
.LBB5_9:                                ;   in Loop: Header=BB5_7 Depth=2
	s_or_b64 exec, exec, s[14:15]
	s_waitcnt vmcnt(0)
	ds_write_b32 v11, v18
	v_add_u32_e32 v18, s16, v8
	v_cndmask_b32_e64 v6, v17, v18, s[6:7]
	v_cndmask_b32_e64 v19, v18, v17, s[6:7]
	v_cmp_gt_i32_e32 vcc, v6, v19
	s_nop 1
	v_cndmask_b32_e32 v6, v18, v17, vcc
	v_cndmask_b32_e32 v18, v17, v18, vcc
	v_max_i32_e32 v19, v6, v18
	v_cmp_gt_i32_e32 vcc, s38, v19
	s_and_saveexec_b64 s[14:15], vcc
	s_cbranch_execz .LBB5_11
; %bb.10:                               ;   in Loop: Header=BB5_7 Depth=2
	v_ashrrev_i32_e32 v7, 31, v18
	v_mul_lo_u32 v20, s13, v18
	v_mul_lo_u32 v7, s12, v7
	v_mad_u64_u32 v[18:19], s[18:19], s12, v18, 0
	v_add3_u32 v19, v19, v7, v20
	v_ashrrev_i32_e32 v7, 31, v6
	v_lshl_add_u64 v[18:19], v[18:19], 2, s[10:11]
	v_lshl_add_u64 v[6:7], v[6:7], 2, v[18:19]
	global_load_dword v7, v[6:7], off
.LBB5_11:                               ;   in Loop: Header=BB5_7 Depth=2
	s_or_b64 exec, exec, s[14:15]
	s_waitcnt vmcnt(0)
	ds_write_b32 v13, v7
	s_waitcnt lgkmcnt(0)
	s_barrier
	s_and_saveexec_b64 s[14:15], s[0:1]
	s_cbranch_execz .LBB5_6
; %bb.12:                               ;   in Loop: Header=BB5_7 Depth=2
	global_load_dword v38, v[4:5], off
	ds_read2_b32 v[6:7], v12 offset1:32
	ds_read_b128 v[18:21], v10
	ds_read_b128 v[22:25], v10 offset:16
	ds_read2_b32 v[34:35], v12 offset0:64 offset1:96
	ds_read_b128 v[26:29], v10 offset:32
	ds_read_b128 v[30:33], v10 offset:48
	ds_read2_b32 v[36:37], v12 offset0:128 offset1:160
	s_waitcnt lgkmcnt(5)
	v_fma_f32 v39, v18, v6, 0
	v_fmac_f32_e32 v39, v19, v7
	ds_read2_b32 v[6:7], v12 offset0:192 offset1:224
	s_waitcnt lgkmcnt(4)
	v_fmac_f32_e32 v39, v20, v34
	v_fmac_f32_e32 v39, v21, v35
	ds_read2_b32 v[18:19], v14 offset1:32
	s_waitcnt lgkmcnt(2)
	v_fmac_f32_e32 v39, v22, v36
	v_fmac_f32_e32 v39, v23, v37
	ds_read2_b32 v[20:21], v14 offset0:64 offset1:96
	s_waitcnt lgkmcnt(2)
	v_fmac_f32_e32 v39, v24, v6
	v_fmac_f32_e32 v39, v25, v7
	ds_read2_b32 v[6:7], v14 offset0:128 offset1:160
	s_waitcnt lgkmcnt(2)
	v_fmac_f32_e32 v39, v26, v18
	v_fmac_f32_e32 v39, v27, v19
	s_waitcnt lgkmcnt(1)
	v_fmac_f32_e32 v39, v28, v20
	ds_read2_b32 v[22:23], v14 offset0:192 offset1:224
	v_fmac_f32_e32 v39, v29, v21
	s_waitcnt lgkmcnt(1)
	v_fmac_f32_e32 v39, v30, v6
	v_fmac_f32_e32 v39, v31, v7
	ds_read_b128 v[18:21], v10 offset:64
	ds_read2_b32 v[6:7], v15 offset1:32
	s_waitcnt lgkmcnt(2)
	v_fmac_f32_e32 v39, v32, v22
	v_fmac_f32_e32 v39, v33, v23
	ds_read2_b32 v[26:27], v15 offset0:64 offset1:96
	ds_read_b128 v[22:25], v10 offset:80
	ds_read2_b32 v[28:29], v15 offset0:128 offset1:160
	s_waitcnt lgkmcnt(3)
	v_fmac_f32_e32 v39, v18, v6
	v_fmac_f32_e32 v39, v19, v7
	ds_read2_b32 v[6:7], v15 offset0:192 offset1:224
	s_waitcnt lgkmcnt(3)
	v_fmac_f32_e32 v39, v20, v26
	v_fmac_f32_e32 v39, v21, v27
	ds_read2_b32 v[26:27], v16 offset1:32
	ds_read_b128 v[18:21], v10 offset:96
	s_waitcnt lgkmcnt(3)
	v_fmac_f32_e32 v39, v22, v28
	v_fmac_f32_e32 v39, v23, v29
	s_waitcnt lgkmcnt(2)
	v_pk_mul_f32 v[6:7], v[24:25], v[6:7]
	s_waitcnt lgkmcnt(0)
	v_pk_mul_f32 v[18:19], v[18:19], v[26:27]
	v_add_f32_e32 v6, v39, v6
	v_add_f32_e32 v28, v6, v7
	ds_read2_b32 v[6:7], v16 offset0:64 offset1:96
	ds_read_b128 v[22:25], v10 offset:112
	v_add_f32_e32 v18, v28, v18
	v_add_f32_e32 v26, v18, v19
	ds_read2_b32 v[18:19], v16 offset0:128 offset1:160
	s_waitcnt lgkmcnt(2)
	v_pk_mul_f32 v[6:7], v[20:21], v[6:7]
	ds_read2_b32 v[20:21], v16 offset0:192 offset1:224
	v_add_f32_e32 v6, v26, v6
	v_add_f32_e32 v26, v6, v7
	s_waitcnt lgkmcnt(1)
	v_pk_mul_f32 v[6:7], v[22:23], v[18:19]
	s_nop 0
	v_add_f32_e32 v6, v26, v6
	v_add_f32_e32 v18, v6, v7
	s_waitcnt lgkmcnt(0)
	v_pk_mul_f32 v[6:7], v[24:25], v[20:21]
	s_nop 0
	v_add_f32_e32 v6, v18, v6
	v_add_f32_e32 v6, v6, v7
	s_waitcnt vmcnt(0)
	v_fmac_f32_e32 v38, s39, v6
	global_store_dword v[4:5], v38, off
	s_branch .LBB5_6
.LBB5_13:
	s_endpgm
	.section	.rodata,"a",@progbits
	.p2align	6, 0x0
	.amdhsa_kernel _ZL24rocblas_symm_hemm_kernelILb0ELb1ELi32EfPKfPfEvbiiT2_T3_lllS4_lllT4_llli
		.amdhsa_group_segment_fixed_size 8192
		.amdhsa_private_segment_fixed_size 0
		.amdhsa_kernarg_size 376
		.amdhsa_user_sgpr_count 2
		.amdhsa_user_sgpr_dispatch_ptr 0
		.amdhsa_user_sgpr_queue_ptr 0
		.amdhsa_user_sgpr_kernarg_segment_ptr 1
		.amdhsa_user_sgpr_dispatch_id 0
		.amdhsa_user_sgpr_kernarg_preload_length 0
		.amdhsa_user_sgpr_kernarg_preload_offset 0
		.amdhsa_user_sgpr_private_segment_size 0
		.amdhsa_uses_dynamic_stack 0
		.amdhsa_enable_private_segment 0
		.amdhsa_system_sgpr_workgroup_id_x 1
		.amdhsa_system_sgpr_workgroup_id_y 1
		.amdhsa_system_sgpr_workgroup_id_z 1
		.amdhsa_system_sgpr_workgroup_info 0
		.amdhsa_system_vgpr_workitem_id 1
		.amdhsa_next_free_vgpr 40
		.amdhsa_next_free_sgpr 40
		.amdhsa_accum_offset 40
		.amdhsa_reserve_vcc 1
		.amdhsa_float_round_mode_32 0
		.amdhsa_float_round_mode_16_64 0
		.amdhsa_float_denorm_mode_32 3
		.amdhsa_float_denorm_mode_16_64 3
		.amdhsa_dx10_clamp 1
		.amdhsa_ieee_mode 1
		.amdhsa_fp16_overflow 0
		.amdhsa_tg_split 0
		.amdhsa_exception_fp_ieee_invalid_op 0
		.amdhsa_exception_fp_denorm_src 0
		.amdhsa_exception_fp_ieee_div_zero 0
		.amdhsa_exception_fp_ieee_overflow 0
		.amdhsa_exception_fp_ieee_underflow 0
		.amdhsa_exception_fp_ieee_inexact 0
		.amdhsa_exception_int_div_zero 0
	.end_amdhsa_kernel
	.section	.text._ZL24rocblas_symm_hemm_kernelILb0ELb1ELi32EfPKfPfEvbiiT2_T3_lllS4_lllT4_llli,"axG",@progbits,_ZL24rocblas_symm_hemm_kernelILb0ELb1ELi32EfPKfPfEvbiiT2_T3_lllS4_lllT4_llli,comdat
.Lfunc_end5:
	.size	_ZL24rocblas_symm_hemm_kernelILb0ELb1ELi32EfPKfPfEvbiiT2_T3_lllS4_lllT4_llli, .Lfunc_end5-_ZL24rocblas_symm_hemm_kernelILb0ELb1ELi32EfPKfPfEvbiiT2_T3_lllS4_lllT4_llli
                                        ; -- End function
	.set _ZL24rocblas_symm_hemm_kernelILb0ELb1ELi32EfPKfPfEvbiiT2_T3_lllS4_lllT4_llli.num_vgpr, 40
	.set _ZL24rocblas_symm_hemm_kernelILb0ELb1ELi32EfPKfPfEvbiiT2_T3_lllS4_lllT4_llli.num_agpr, 0
	.set _ZL24rocblas_symm_hemm_kernelILb0ELb1ELi32EfPKfPfEvbiiT2_T3_lllS4_lllT4_llli.numbered_sgpr, 40
	.set _ZL24rocblas_symm_hemm_kernelILb0ELb1ELi32EfPKfPfEvbiiT2_T3_lllS4_lllT4_llli.num_named_barrier, 0
	.set _ZL24rocblas_symm_hemm_kernelILb0ELb1ELi32EfPKfPfEvbiiT2_T3_lllS4_lllT4_llli.private_seg_size, 0
	.set _ZL24rocblas_symm_hemm_kernelILb0ELb1ELi32EfPKfPfEvbiiT2_T3_lllS4_lllT4_llli.uses_vcc, 1
	.set _ZL24rocblas_symm_hemm_kernelILb0ELb1ELi32EfPKfPfEvbiiT2_T3_lllS4_lllT4_llli.uses_flat_scratch, 0
	.set _ZL24rocblas_symm_hemm_kernelILb0ELb1ELi32EfPKfPfEvbiiT2_T3_lllS4_lllT4_llli.has_dyn_sized_stack, 0
	.set _ZL24rocblas_symm_hemm_kernelILb0ELb1ELi32EfPKfPfEvbiiT2_T3_lllS4_lllT4_llli.has_recursion, 0
	.set _ZL24rocblas_symm_hemm_kernelILb0ELb1ELi32EfPKfPfEvbiiT2_T3_lllS4_lllT4_llli.has_indirect_call, 0
	.section	.AMDGPU.csdata,"",@progbits
; Kernel info:
; codeLenInByte = 1168
; TotalNumSgprs: 46
; NumVgprs: 40
; NumAgprs: 0
; TotalNumVgprs: 40
; ScratchSize: 0
; MemoryBound: 0
; FloatMode: 240
; IeeeMode: 1
; LDSByteSize: 8192 bytes/workgroup (compile time only)
; SGPRBlocks: 5
; VGPRBlocks: 4
; NumSGPRsForWavesPerEU: 46
; NumVGPRsForWavesPerEU: 40
; AccumOffset: 40
; Occupancy: 8
; WaveLimiterHint : 0
; COMPUTE_PGM_RSRC2:SCRATCH_EN: 0
; COMPUTE_PGM_RSRC2:USER_SGPR: 2
; COMPUTE_PGM_RSRC2:TRAP_HANDLER: 0
; COMPUTE_PGM_RSRC2:TGID_X_EN: 1
; COMPUTE_PGM_RSRC2:TGID_Y_EN: 1
; COMPUTE_PGM_RSRC2:TGID_Z_EN: 1
; COMPUTE_PGM_RSRC2:TIDIG_COMP_CNT: 1
; COMPUTE_PGM_RSRC3_GFX90A:ACCUM_OFFSET: 9
; COMPUTE_PGM_RSRC3_GFX90A:TG_SPLIT: 0
	.section	.text._ZL25rocblas_symm_scale_kernelILi128ELi8EPKdPdEviiT1_T2_llli,"axG",@progbits,_ZL25rocblas_symm_scale_kernelILi128ELi8EPKdPdEviiT1_T2_llli,comdat
	.globl	_ZL25rocblas_symm_scale_kernelILi128ELi8EPKdPdEviiT1_T2_llli ; -- Begin function _ZL25rocblas_symm_scale_kernelILi128ELi8EPKdPdEviiT1_T2_llli
	.p2align	8
	.type	_ZL25rocblas_symm_scale_kernelILi128ELi8EPKdPdEviiT1_T2_llli,@function
_ZL25rocblas_symm_scale_kernelILi128ELi8EPKdPdEviiT1_T2_llli: ; @_ZL25rocblas_symm_scale_kernelILi128ELi8EPKdPdEviiT1_T2_llli
; %bb.0:
	s_load_dwordx8 s[8:15], s[0:1], 0x8
	s_waitcnt lgkmcnt(0)
	s_load_dwordx2 s[6:7], s[8:9], 0x0
	s_waitcnt lgkmcnt(0)
	v_cmp_eq_f64_e64 s[8:9], s[6:7], 1.0
	s_and_b64 vcc, exec, s[8:9]
	s_cbranch_vccnz .LBB6_7
; %bb.1:
	s_load_dwordx2 s[16:17], s[0:1], 0x0
	v_and_b32_e32 v1, 0x3ff, v0
	v_bfe_u32 v0, v0, 10, 10
	v_lshl_add_u32 v2, s2, 7, v1
	v_lshl_add_u32 v0, s3, 3, v0
	v_mov_b32_e32 v1, 0
	s_waitcnt lgkmcnt(0)
	s_ashr_i32 s9, s17, 31
	s_mov_b32 s8, s17
	v_cmp_gt_u32_e32 vcc, s16, v2
	v_cmp_gt_i64_e64 s[2:3], s[8:9], v[0:1]
	s_and_b64 s[2:3], vcc, s[2:3]
	s_and_saveexec_b64 s[16:17], s[2:3]
	s_cbranch_execz .LBB6_7
; %bb.2:
	s_load_dword s5, s[0:1], 0x3c
	s_load_dwordx2 s[18:19], s[0:1], 0x28
	v_mov_b32_e32 v3, v1
	s_mov_b64 s[2:3], 0
	s_mov_b32 s17, 0
	s_waitcnt lgkmcnt(0)
	s_lshl_b32 s16, s5, 3
	s_mul_i32 s0, s19, s4
	s_mul_hi_u32 s1, s18, s4
	s_add_i32 s1, s1, s0
	s_mul_i32 s0, s18, s4
	v_mad_u64_u32 v[4:5], s[4:5], s14, v0, 0
	v_mov_b32_e32 v6, v5
	v_mad_u64_u32 v[6:7], s[4:5], s15, v0, v[6:7]
	s_lshl_b64 s[0:1], s[0:1], 3
	s_lshl_b64 s[4:5], s[12:13], 3
	s_add_u32 s0, s4, s0
	v_mov_b32_e32 v5, v6
	s_addc_u32 s1, s5, s1
	v_lshl_add_u64 v[4:5], v[4:5], 3, s[0:1]
	s_mul_i32 s0, s15, s16
	s_mul_hi_u32 s1, s14, s16
	s_add_i32 s1, s1, s0
	s_mul_i32 s0, s14, s16
	s_lshl_b64 s[4:5], s[0:1], 3
	v_cmp_neq_f64_e64 s[0:1], s[6:7], 0
	v_lshl_add_u64 v[2:3], v[2:3], 3, v[4:5]
	v_lshl_add_u64 v[2:3], s[10:11], 0, v[2:3]
	v_cndmask_b32_e64 v4, 0, 1, s[0:1]
	v_cmp_ne_u32_e64 s[0:1], 1, v4
	s_branch .LBB6_5
.LBB6_3:                                ;   in Loop: Header=BB6_5 Depth=1
	global_load_dwordx2 v[4:5], v[2:3], off
	s_waitcnt vmcnt(0)
	v_mul_f64 v[4:5], s[6:7], v[4:5]
.LBB6_4:                                ;   in Loop: Header=BB6_5 Depth=1
	v_lshl_add_u64 v[0:1], v[0:1], 0, s[16:17]
	v_cmp_le_i64_e32 vcc, s[8:9], v[0:1]
	global_store_dwordx2 v[2:3], v[4:5], off
	s_or_b64 s[2:3], vcc, s[2:3]
	v_lshl_add_u64 v[2:3], v[2:3], 0, s[4:5]
	s_andn2_b64 exec, exec, s[2:3]
	s_cbranch_execz .LBB6_7
.LBB6_5:                                ; =>This Inner Loop Header: Depth=1
	s_and_b64 vcc, exec, s[0:1]
	s_cbranch_vccz .LBB6_3
; %bb.6:                                ;   in Loop: Header=BB6_5 Depth=1
	v_mov_b64_e32 v[4:5], 0
	s_branch .LBB6_4
.LBB6_7:
	s_endpgm
	.section	.rodata,"a",@progbits
	.p2align	6, 0x0
	.amdhsa_kernel _ZL25rocblas_symm_scale_kernelILi128ELi8EPKdPdEviiT1_T2_llli
		.amdhsa_group_segment_fixed_size 0
		.amdhsa_private_segment_fixed_size 0
		.amdhsa_kernarg_size 312
		.amdhsa_user_sgpr_count 2
		.amdhsa_user_sgpr_dispatch_ptr 0
		.amdhsa_user_sgpr_queue_ptr 0
		.amdhsa_user_sgpr_kernarg_segment_ptr 1
		.amdhsa_user_sgpr_dispatch_id 0
		.amdhsa_user_sgpr_kernarg_preload_length 0
		.amdhsa_user_sgpr_kernarg_preload_offset 0
		.amdhsa_user_sgpr_private_segment_size 0
		.amdhsa_uses_dynamic_stack 0
		.amdhsa_enable_private_segment 0
		.amdhsa_system_sgpr_workgroup_id_x 1
		.amdhsa_system_sgpr_workgroup_id_y 1
		.amdhsa_system_sgpr_workgroup_id_z 1
		.amdhsa_system_sgpr_workgroup_info 0
		.amdhsa_system_vgpr_workitem_id 1
		.amdhsa_next_free_vgpr 8
		.amdhsa_next_free_sgpr 20
		.amdhsa_accum_offset 8
		.amdhsa_reserve_vcc 1
		.amdhsa_float_round_mode_32 0
		.amdhsa_float_round_mode_16_64 0
		.amdhsa_float_denorm_mode_32 3
		.amdhsa_float_denorm_mode_16_64 3
		.amdhsa_dx10_clamp 1
		.amdhsa_ieee_mode 1
		.amdhsa_fp16_overflow 0
		.amdhsa_tg_split 0
		.amdhsa_exception_fp_ieee_invalid_op 0
		.amdhsa_exception_fp_denorm_src 0
		.amdhsa_exception_fp_ieee_div_zero 0
		.amdhsa_exception_fp_ieee_overflow 0
		.amdhsa_exception_fp_ieee_underflow 0
		.amdhsa_exception_fp_ieee_inexact 0
		.amdhsa_exception_int_div_zero 0
	.end_amdhsa_kernel
	.section	.text._ZL25rocblas_symm_scale_kernelILi128ELi8EPKdPdEviiT1_T2_llli,"axG",@progbits,_ZL25rocblas_symm_scale_kernelILi128ELi8EPKdPdEviiT1_T2_llli,comdat
.Lfunc_end6:
	.size	_ZL25rocblas_symm_scale_kernelILi128ELi8EPKdPdEviiT1_T2_llli, .Lfunc_end6-_ZL25rocblas_symm_scale_kernelILi128ELi8EPKdPdEviiT1_T2_llli
                                        ; -- End function
	.set _ZL25rocblas_symm_scale_kernelILi128ELi8EPKdPdEviiT1_T2_llli.num_vgpr, 8
	.set _ZL25rocblas_symm_scale_kernelILi128ELi8EPKdPdEviiT1_T2_llli.num_agpr, 0
	.set _ZL25rocblas_symm_scale_kernelILi128ELi8EPKdPdEviiT1_T2_llli.numbered_sgpr, 20
	.set _ZL25rocblas_symm_scale_kernelILi128ELi8EPKdPdEviiT1_T2_llli.num_named_barrier, 0
	.set _ZL25rocblas_symm_scale_kernelILi128ELi8EPKdPdEviiT1_T2_llli.private_seg_size, 0
	.set _ZL25rocblas_symm_scale_kernelILi128ELi8EPKdPdEviiT1_T2_llli.uses_vcc, 1
	.set _ZL25rocblas_symm_scale_kernelILi128ELi8EPKdPdEviiT1_T2_llli.uses_flat_scratch, 0
	.set _ZL25rocblas_symm_scale_kernelILi128ELi8EPKdPdEviiT1_T2_llli.has_dyn_sized_stack, 0
	.set _ZL25rocblas_symm_scale_kernelILi128ELi8EPKdPdEviiT1_T2_llli.has_recursion, 0
	.set _ZL25rocblas_symm_scale_kernelILi128ELi8EPKdPdEviiT1_T2_llli.has_indirect_call, 0
	.section	.AMDGPU.csdata,"",@progbits
; Kernel info:
; codeLenInByte = 364
; TotalNumSgprs: 26
; NumVgprs: 8
; NumAgprs: 0
; TotalNumVgprs: 8
; ScratchSize: 0
; MemoryBound: 1
; FloatMode: 240
; IeeeMode: 1
; LDSByteSize: 0 bytes/workgroup (compile time only)
; SGPRBlocks: 3
; VGPRBlocks: 0
; NumSGPRsForWavesPerEU: 26
; NumVGPRsForWavesPerEU: 8
; AccumOffset: 8
; Occupancy: 8
; WaveLimiterHint : 0
; COMPUTE_PGM_RSRC2:SCRATCH_EN: 0
; COMPUTE_PGM_RSRC2:USER_SGPR: 2
; COMPUTE_PGM_RSRC2:TRAP_HANDLER: 0
; COMPUTE_PGM_RSRC2:TGID_X_EN: 1
; COMPUTE_PGM_RSRC2:TGID_Y_EN: 1
; COMPUTE_PGM_RSRC2:TGID_Z_EN: 1
; COMPUTE_PGM_RSRC2:TIDIG_COMP_CNT: 1
; COMPUTE_PGM_RSRC3_GFX90A:ACCUM_OFFSET: 1
; COMPUTE_PGM_RSRC3_GFX90A:TG_SPLIT: 0
	.section	.text._ZL24rocblas_symm_hemm_kernelILb0ELb0ELi32EPKdS1_PdEvbiiT2_T3_lllS4_lllT4_llli,"axG",@progbits,_ZL24rocblas_symm_hemm_kernelILb0ELb0ELi32EPKdS1_PdEvbiiT2_T3_lllS4_lllT4_llli,comdat
	.globl	_ZL24rocblas_symm_hemm_kernelILb0ELb0ELi32EPKdS1_PdEvbiiT2_T3_lllS4_lllT4_llli ; -- Begin function _ZL24rocblas_symm_hemm_kernelILb0ELb0ELi32EPKdS1_PdEvbiiT2_T3_lllS4_lllT4_llli
	.p2align	8
	.type	_ZL24rocblas_symm_hemm_kernelILb0ELb0ELi32EPKdS1_PdEvbiiT2_T3_lllS4_lllT4_llli,@function
_ZL24rocblas_symm_hemm_kernelILb0ELb0ELi32EPKdS1_PdEvbiiT2_T3_lllS4_lllT4_llli: ; @_ZL24rocblas_symm_hemm_kernelILb0ELb0ELi32EPKdS1_PdEvbiiT2_T3_lllS4_lllT4_llli
; %bb.0:
	s_load_dwordx16 s[8:23], s[0:1], 0x10
	s_waitcnt lgkmcnt(0)
	s_load_dwordx2 s[34:35], s[8:9], 0x0
	s_waitcnt lgkmcnt(0)
	v_cmp_eq_f64_e64 s[6:7], s[34:35], 0
	s_and_b64 vcc, exec, s[6:7]
	s_cbranch_vccnz .LBB7_13
; %bb.1:
	s_load_dwordx4 s[36:39], s[0:1], 0x0
	s_waitcnt lgkmcnt(0)
	s_add_i32 s5, s38, -1
	s_ashr_i32 s6, s5, 31
	s_lshr_b32 s6, s6, 27
	s_add_i32 s5, s5, s6
	s_ashr_i32 s33, s5, 5
	s_cmp_gt_i32 s3, s33
	s_cbranch_scc1 .LBB7_13
; %bb.2:
	s_mul_i32 s5, s17, s4
	s_mul_hi_u32 s6, s16, s4
	s_load_dwordx8 s[24:31], s[0:1], 0x50
	s_load_dwordx2 s[8:9], s[0:1], 0x70
	s_add_i32 s7, s6, s5
	s_mul_i32 s6, s16, s4
	s_lshl_b64 s[6:7], s[6:7], 3
	s_add_u32 s5, s10, s6
	s_addc_u32 s11, s11, s7
	s_lshl_b64 s[6:7], s[12:13], 3
	s_add_u32 s10, s5, s6
	s_waitcnt lgkmcnt(0)
	s_mul_i32 s5, s25, s4
	s_mul_hi_u32 s6, s24, s4
	s_addc_u32 s11, s11, s7
	s_add_i32 s7, s6, s5
	s_mul_i32 s6, s24, s4
	s_lshl_b64 s[6:7], s[6:7], 3
	s_add_u32 s5, s18, s6
	s_addc_u32 s13, s19, s7
	s_lshl_b64 s[6:7], s[20:21], 3
	s_add_u32 s12, s5, s6
	s_addc_u32 s13, s13, s7
	s_bitcmp1_b32 s36, 0
	s_load_dword s20, s[0:1], 0x84
	s_mul_i32 s0, s9, s4
	s_mul_hi_u32 s1, s8, s4
	s_cselect_b64 s[6:7], -1, 0
	s_add_i32 s1, s1, s0
	s_mul_i32 s0, s8, s4
	s_lshl_b64 s[0:1], s[0:1], 3
	s_add_u32 s4, s26, s0
	s_addc_u32 s5, s27, s1
	s_lshl_b64 s[0:1], s[28:29], 3
	s_add_u32 s4, s4, s0
	v_and_b32_e32 v14, 0x3ff, v0
	s_addc_u32 s5, s5, s1
	v_lshl_add_u32 v2, s2, 5, v14
	v_bfe_u32 v15, v0, 10, 10
	s_cmp_gt_i32 s37, 0
	v_lshlrev_b32_e32 v16, 8, v14
	v_lshlrev_b32_e32 v0, 3, v15
	v_ashrrev_i32_e32 v3, 31, v2
	v_add_u32_e32 v17, v16, v0
	v_or_b32_e32 v18, 0x2000, v0
	v_lshl_add_u64 v[0:1], v[2:3], 3, s[4:5]
	s_cselect_b64 s[4:5], -1, 0
	v_cndmask_b32_e64 v3, 0, 1, s[4:5]
	v_add_u32_e32 v19, v18, v16
	v_cmp_gt_i32_e64 s[0:1], s37, v2
	v_cmp_ne_u32_e64 s[4:5], 1, v3
	v_add_u32_e32 v3, 0x800, v18
	v_add_u32_e32 v20, 0x1000, v18
	;; [unrolled: 1-line block ×3, first 2 shown]
	s_branch .LBB7_4
.LBB7_3:                                ;   in Loop: Header=BB7_4 Depth=1
	s_waitcnt lgkmcnt(0)
	s_add_i32 s3, s3, s20
	s_cmp_gt_i32 s3, s33
	s_cbranch_scc1 .LBB7_13
.LBB7_4:                                ; =>This Loop Header: Depth=1
                                        ;     Child Loop BB7_7 Depth 2
	s_and_b64 vcc, exec, s[4:5]
	s_cbranch_vccnz .LBB7_3
; %bb.5:                                ;   in Loop: Header=BB7_4 Depth=1
	v_lshl_add_u32 v6, s3, 5, v15
	v_ashrrev_i32_e32 v7, 31, v6
	v_mul_lo_u32 v8, s22, v7
	v_mul_lo_u32 v9, s23, v6
	v_mad_u64_u32 v[4:5], s[8:9], s22, v6, 0
	v_cmp_gt_i32_e32 vcc, s38, v6
	v_add3_u32 v5, v5, v8, v9
	v_mul_lo_u32 v8, s30, v7
	v_mul_lo_u32 v9, s31, v6
	v_mad_u64_u32 v[6:7], s[8:9], s30, v6, 0
	v_add3_u32 v7, v7, v8, v9
	v_lshl_add_u64 v[4:5], v[4:5], 3, s[12:13]
	s_and_b64 s[16:17], s[0:1], vcc
	v_lshl_add_u64 v[6:7], v[6:7], 3, v[0:1]
	s_mov_b32 s2, 0
	s_branch .LBB7_7
.LBB7_6:                                ;   in Loop: Header=BB7_7 Depth=2
	s_or_b64 exec, exec, s[8:9]
	s_add_i32 s2, s2, 32
	s_cmp_ge_i32 s2, s37
	s_barrier
	s_cbranch_scc1 .LBB7_3
.LBB7_7:                                ;   Parent Loop BB7_4 Depth=1
                                        ; =>  This Inner Loop Header: Depth=2
	v_add_u32_e32 v8, s2, v15
	v_cndmask_b32_e64 v9, v8, v2, s[6:7]
	v_cndmask_b32_e64 v10, v2, v8, s[6:7]
	v_cmp_gt_i32_e64 s[8:9], v9, v10
	v_mov_b64_e32 v[12:13], 0
	s_nop 0
	v_cndmask_b32_e64 v10, v2, v8, s[8:9]
	v_cndmask_b32_e64 v11, v8, v2, s[8:9]
	v_max_i32_e32 v8, v10, v11
	v_cmp_gt_i32_e64 s[8:9], s37, v8
	v_mov_b64_e32 v[8:9], 0
	s_and_saveexec_b64 s[18:19], s[8:9]
	s_cbranch_execz .LBB7_9
; %bb.8:                                ;   in Loop: Header=BB7_7 Depth=2
	v_ashrrev_i32_e32 v12, 31, v11
	v_mul_lo_u32 v22, s15, v11
	v_mul_lo_u32 v23, s14, v12
	v_mad_u64_u32 v[12:13], s[8:9], s14, v11, 0
	v_add3_u32 v13, v13, v23, v22
	v_ashrrev_i32_e32 v11, 31, v10
	v_lshl_add_u64 v[12:13], v[12:13], 3, s[10:11]
	v_lshl_add_u64 v[10:11], v[10:11], 3, v[12:13]
	global_load_dwordx2 v[12:13], v[10:11], off
.LBB7_9:                                ;   in Loop: Header=BB7_7 Depth=2
	s_or_b64 exec, exec, s[18:19]
	v_add_u32_e32 v10, s2, v14
	v_cmp_gt_i32_e64 s[8:9], s37, v10
	s_and_b64 s[18:19], s[8:9], vcc
	s_waitcnt vmcnt(0)
	ds_write_b64 v17, v[12:13]
	s_and_saveexec_b64 s[8:9], s[18:19]
	s_cbranch_execz .LBB7_11
; %bb.10:                               ;   in Loop: Header=BB7_7 Depth=2
	v_ashrrev_i32_e32 v11, 31, v10
	v_lshl_add_u64 v[8:9], v[10:11], 3, v[4:5]
	global_load_dwordx2 v[8:9], v[8:9], off
.LBB7_11:                               ;   in Loop: Header=BB7_7 Depth=2
	s_or_b64 exec, exec, s[8:9]
	s_waitcnt vmcnt(0)
	ds_write_b64 v19, v[8:9]
	s_waitcnt lgkmcnt(0)
	s_barrier
	s_and_saveexec_b64 s[8:9], s[16:17]
	s_cbranch_execz .LBB7_6
; %bb.12:                               ;   in Loop: Header=BB7_7 Depth=2
	global_load_dwordx2 v[12:13], v[6:7], off
	ds_read2_b64 v[8:11], v18 offset1:32
	ds_read_b128 v[22:25], v16
	ds_read_b128 v[26:29], v16 offset:16
	ds_read2_b64 v[30:33], v18 offset0:64 offset1:96
	ds_read_b128 v[34:37], v16 offset:32
	ds_read_b128 v[38:41], v16 offset:48
	ds_read2_b64 v[42:45], v18 offset0:128 offset1:160
	s_waitcnt lgkmcnt(5)
	v_fma_f64 v[46:47], v[22:23], v[8:9], 0
	v_fmac_f64_e32 v[46:47], v[24:25], v[10:11]
	ds_read2_b64 v[8:11], v18 offset0:192 offset1:224
	s_waitcnt lgkmcnt(4)
	v_fmac_f64_e32 v[46:47], v[26:27], v[30:31]
	v_fmac_f64_e32 v[46:47], v[28:29], v[32:33]
	s_waitcnt lgkmcnt(1)
	v_fmac_f64_e32 v[46:47], v[34:35], v[42:43]
	v_fmac_f64_e32 v[46:47], v[36:37], v[44:45]
	ds_read_b128 v[22:25], v16 offset:64
	ds_read2_b64 v[26:29], v3 offset1:32
	s_waitcnt lgkmcnt(2)
	v_fmac_f64_e32 v[46:47], v[38:39], v[8:9]
	v_fmac_f64_e32 v[46:47], v[40:41], v[10:11]
	ds_read_b128 v[8:11], v16 offset:80
	ds_read2_b64 v[30:33], v3 offset0:64 offset1:96
	s_waitcnt lgkmcnt(2)
	v_fmac_f64_e32 v[46:47], v[22:23], v[26:27]
	v_fmac_f64_e32 v[46:47], v[24:25], v[28:29]
	ds_read_b128 v[22:25], v16 offset:96
	ds_read2_b64 v[26:29], v3 offset0:128 offset1:160
	s_waitcnt lgkmcnt(2)
	v_fmac_f64_e32 v[46:47], v[8:9], v[30:31]
	v_fmac_f64_e32 v[46:47], v[10:11], v[32:33]
	ds_read_b128 v[8:11], v16 offset:112
	ds_read2_b64 v[30:33], v3 offset0:192 offset1:224
	s_waitcnt lgkmcnt(2)
	v_fmac_f64_e32 v[46:47], v[22:23], v[26:27]
	v_fmac_f64_e32 v[46:47], v[24:25], v[28:29]
	ds_read_b128 v[22:25], v16 offset:128
	ds_read2_b64 v[26:29], v20 offset1:32
	s_waitcnt lgkmcnt(2)
	v_fmac_f64_e32 v[46:47], v[8:9], v[30:31]
	v_fmac_f64_e32 v[46:47], v[10:11], v[32:33]
	ds_read_b128 v[8:11], v16 offset:144
	ds_read2_b64 v[30:33], v20 offset0:64 offset1:96
	s_waitcnt lgkmcnt(2)
	v_fmac_f64_e32 v[46:47], v[22:23], v[26:27]
	v_fmac_f64_e32 v[46:47], v[24:25], v[28:29]
	ds_read_b128 v[22:25], v16 offset:160
	ds_read2_b64 v[26:29], v20 offset0:128 offset1:160
	;; [unrolled: 5-line block ×3, first 2 shown]
	ds_read_b128 v[34:37], v16 offset:192
	ds_read2_b64 v[38:41], v21 offset1:32
	s_waitcnt lgkmcnt(4)
	v_fmac_f64_e32 v[46:47], v[22:23], v[26:27]
	v_fmac_f64_e32 v[46:47], v[24:25], v[28:29]
	s_waitcnt lgkmcnt(2)
	v_fmac_f64_e32 v[46:47], v[8:9], v[30:31]
	v_fmac_f64_e32 v[46:47], v[10:11], v[32:33]
	ds_read_b128 v[8:11], v16 offset:208
	s_waitcnt lgkmcnt(1)
	v_fmac_f64_e32 v[46:47], v[34:35], v[38:39]
	v_fmac_f64_e32 v[46:47], v[36:37], v[40:41]
	ds_read2_b64 v[22:25], v21 offset0:64 offset1:96
	ds_read2_b64 v[26:29], v21 offset0:128 offset1:160
	ds_read_b128 v[30:33], v16 offset:224
	ds_read_b128 v[34:37], v16 offset:240
	ds_read2_b64 v[38:41], v21 offset0:192 offset1:224
	s_waitcnt lgkmcnt(4)
	v_fmac_f64_e32 v[46:47], v[8:9], v[22:23]
	v_fmac_f64_e32 v[46:47], v[10:11], v[24:25]
	s_waitcnt lgkmcnt(2)
	v_fmac_f64_e32 v[46:47], v[30:31], v[26:27]
	v_fmac_f64_e32 v[46:47], v[32:33], v[28:29]
	;; [unrolled: 3-line block ×3, first 2 shown]
	s_waitcnt vmcnt(0)
	v_fmac_f64_e32 v[12:13], s[34:35], v[46:47]
	global_store_dwordx2 v[6:7], v[12:13], off
	s_branch .LBB7_6
.LBB7_13:
	s_endpgm
	.section	.rodata,"a",@progbits
	.p2align	6, 0x0
	.amdhsa_kernel _ZL24rocblas_symm_hemm_kernelILb0ELb0ELi32EPKdS1_PdEvbiiT2_T3_lllS4_lllT4_llli
		.amdhsa_group_segment_fixed_size 16384
		.amdhsa_private_segment_fixed_size 0
		.amdhsa_kernarg_size 384
		.amdhsa_user_sgpr_count 2
		.amdhsa_user_sgpr_dispatch_ptr 0
		.amdhsa_user_sgpr_queue_ptr 0
		.amdhsa_user_sgpr_kernarg_segment_ptr 1
		.amdhsa_user_sgpr_dispatch_id 0
		.amdhsa_user_sgpr_kernarg_preload_length 0
		.amdhsa_user_sgpr_kernarg_preload_offset 0
		.amdhsa_user_sgpr_private_segment_size 0
		.amdhsa_uses_dynamic_stack 0
		.amdhsa_enable_private_segment 0
		.amdhsa_system_sgpr_workgroup_id_x 1
		.amdhsa_system_sgpr_workgroup_id_y 1
		.amdhsa_system_sgpr_workgroup_id_z 1
		.amdhsa_system_sgpr_workgroup_info 0
		.amdhsa_system_vgpr_workitem_id 1
		.amdhsa_next_free_vgpr 48
		.amdhsa_next_free_sgpr 40
		.amdhsa_accum_offset 48
		.amdhsa_reserve_vcc 1
		.amdhsa_float_round_mode_32 0
		.amdhsa_float_round_mode_16_64 0
		.amdhsa_float_denorm_mode_32 3
		.amdhsa_float_denorm_mode_16_64 3
		.amdhsa_dx10_clamp 1
		.amdhsa_ieee_mode 1
		.amdhsa_fp16_overflow 0
		.amdhsa_tg_split 0
		.amdhsa_exception_fp_ieee_invalid_op 0
		.amdhsa_exception_fp_denorm_src 0
		.amdhsa_exception_fp_ieee_div_zero 0
		.amdhsa_exception_fp_ieee_overflow 0
		.amdhsa_exception_fp_ieee_underflow 0
		.amdhsa_exception_fp_ieee_inexact 0
		.amdhsa_exception_int_div_zero 0
	.end_amdhsa_kernel
	.section	.text._ZL24rocblas_symm_hemm_kernelILb0ELb0ELi32EPKdS1_PdEvbiiT2_T3_lllS4_lllT4_llli,"axG",@progbits,_ZL24rocblas_symm_hemm_kernelILb0ELb0ELi32EPKdS1_PdEvbiiT2_T3_lllS4_lllT4_llli,comdat
.Lfunc_end7:
	.size	_ZL24rocblas_symm_hemm_kernelILb0ELb0ELi32EPKdS1_PdEvbiiT2_T3_lllS4_lllT4_llli, .Lfunc_end7-_ZL24rocblas_symm_hemm_kernelILb0ELb0ELi32EPKdS1_PdEvbiiT2_T3_lllS4_lllT4_llli
                                        ; -- End function
	.set _ZL24rocblas_symm_hemm_kernelILb0ELb0ELi32EPKdS1_PdEvbiiT2_T3_lllS4_lllT4_llli.num_vgpr, 48
	.set _ZL24rocblas_symm_hemm_kernelILb0ELb0ELi32EPKdS1_PdEvbiiT2_T3_lllS4_lllT4_llli.num_agpr, 0
	.set _ZL24rocblas_symm_hemm_kernelILb0ELb0ELi32EPKdS1_PdEvbiiT2_T3_lllS4_lllT4_llli.numbered_sgpr, 40
	.set _ZL24rocblas_symm_hemm_kernelILb0ELb0ELi32EPKdS1_PdEvbiiT2_T3_lllS4_lllT4_llli.num_named_barrier, 0
	.set _ZL24rocblas_symm_hemm_kernelILb0ELb0ELi32EPKdS1_PdEvbiiT2_T3_lllS4_lllT4_llli.private_seg_size, 0
	.set _ZL24rocblas_symm_hemm_kernelILb0ELb0ELi32EPKdS1_PdEvbiiT2_T3_lllS4_lllT4_llli.uses_vcc, 1
	.set _ZL24rocblas_symm_hemm_kernelILb0ELb0ELi32EPKdS1_PdEvbiiT2_T3_lllS4_lllT4_llli.uses_flat_scratch, 0
	.set _ZL24rocblas_symm_hemm_kernelILb0ELb0ELi32EPKdS1_PdEvbiiT2_T3_lllS4_lllT4_llli.has_dyn_sized_stack, 0
	.set _ZL24rocblas_symm_hemm_kernelILb0ELb0ELi32EPKdS1_PdEvbiiT2_T3_lllS4_lllT4_llli.has_recursion, 0
	.set _ZL24rocblas_symm_hemm_kernelILb0ELb0ELi32EPKdS1_PdEvbiiT2_T3_lllS4_lllT4_llli.has_indirect_call, 0
	.section	.AMDGPU.csdata,"",@progbits
; Kernel info:
; codeLenInByte = 1224
; TotalNumSgprs: 46
; NumVgprs: 48
; NumAgprs: 0
; TotalNumVgprs: 48
; ScratchSize: 0
; MemoryBound: 0
; FloatMode: 240
; IeeeMode: 1
; LDSByteSize: 16384 bytes/workgroup (compile time only)
; SGPRBlocks: 5
; VGPRBlocks: 5
; NumSGPRsForWavesPerEU: 46
; NumVGPRsForWavesPerEU: 48
; AccumOffset: 48
; Occupancy: 8
; WaveLimiterHint : 0
; COMPUTE_PGM_RSRC2:SCRATCH_EN: 0
; COMPUTE_PGM_RSRC2:USER_SGPR: 2
; COMPUTE_PGM_RSRC2:TRAP_HANDLER: 0
; COMPUTE_PGM_RSRC2:TGID_X_EN: 1
; COMPUTE_PGM_RSRC2:TGID_Y_EN: 1
; COMPUTE_PGM_RSRC2:TGID_Z_EN: 1
; COMPUTE_PGM_RSRC2:TIDIG_COMP_CNT: 1
; COMPUTE_PGM_RSRC3_GFX90A:ACCUM_OFFSET: 11
; COMPUTE_PGM_RSRC3_GFX90A:TG_SPLIT: 0
	.section	.text._ZL24rocblas_symm_hemm_kernelILb0ELb1ELi32EPKdS1_PdEvbiiT2_T3_lllS4_lllT4_llli,"axG",@progbits,_ZL24rocblas_symm_hemm_kernelILb0ELb1ELi32EPKdS1_PdEvbiiT2_T3_lllS4_lllT4_llli,comdat
	.globl	_ZL24rocblas_symm_hemm_kernelILb0ELb1ELi32EPKdS1_PdEvbiiT2_T3_lllS4_lllT4_llli ; -- Begin function _ZL24rocblas_symm_hemm_kernelILb0ELb1ELi32EPKdS1_PdEvbiiT2_T3_lllS4_lllT4_llli
	.p2align	8
	.type	_ZL24rocblas_symm_hemm_kernelILb0ELb1ELi32EPKdS1_PdEvbiiT2_T3_lllS4_lllT4_llli,@function
_ZL24rocblas_symm_hemm_kernelILb0ELb1ELi32EPKdS1_PdEvbiiT2_T3_lllS4_lllT4_llli: ; @_ZL24rocblas_symm_hemm_kernelILb0ELb1ELi32EPKdS1_PdEvbiiT2_T3_lllS4_lllT4_llli
; %bb.0:
	s_load_dwordx16 s[8:23], s[0:1], 0x10
	s_waitcnt lgkmcnt(0)
	s_load_dwordx2 s[8:9], s[8:9], 0x0
	s_waitcnt lgkmcnt(0)
	v_cmp_eq_f64_e64 s[6:7], s[8:9], 0
	s_and_b64 vcc, exec, s[6:7]
	s_cbranch_vccnz .LBB8_13
; %bb.1:
	s_load_dwordx4 s[36:39], s[0:1], 0x0
	s_waitcnt lgkmcnt(0)
	s_add_i32 s5, s38, -1
	s_ashr_i32 s6, s5, 31
	s_lshr_b32 s6, s6, 27
	s_add_i32 s5, s5, s6
	s_ashr_i32 s33, s5, 5
	s_cmp_gt_i32 s3, s33
	s_cbranch_scc1 .LBB8_13
; %bb.2:
	s_mul_i32 s5, s17, s4
	s_mul_hi_u32 s6, s16, s4
	s_add_i32 s7, s6, s5
	s_mul_i32 s6, s16, s4
	s_lshl_b64 s[6:7], s[6:7], 3
	s_add_u32 s5, s10, s6
	s_addc_u32 s11, s11, s7
	s_lshl_b64 s[6:7], s[12:13], 3
	s_load_dwordx2 s[12:13], s[0:1], 0x70
	s_add_u32 s10, s5, s6
	s_addc_u32 s11, s11, s7
	s_load_dwordx8 s[24:31], s[0:1], 0x50
	s_load_dword s34, s[0:1], 0x84
	s_bitcmp1_b32 s36, 0
	s_waitcnt lgkmcnt(0)
	s_mul_i32 s0, s13, s4
	s_mul_hi_u32 s1, s12, s4
	s_cselect_b64 s[6:7], -1, 0
	s_add_i32 s1, s1, s0
	s_mul_i32 s0, s12, s4
	s_lshl_b64 s[0:1], s[0:1], 3
	s_add_u32 s5, s26, s0
	s_addc_u32 s13, s27, s1
	s_lshl_b64 s[0:1], s[28:29], 3
	s_add_u32 s12, s5, s0
	s_addc_u32 s13, s13, s1
	s_mul_i32 s0, s25, s4
	s_mul_hi_u32 s1, s24, s4
	s_add_i32 s1, s1, s0
	s_mul_i32 s0, s24, s4
	s_lshl_b64 s[0:1], s[0:1], 3
	s_add_u32 s4, s18, s0
	s_addc_u32 s5, s19, s1
	s_lshl_b64 s[0:1], s[20:21], 3
	v_and_b32_e32 v10, 0x3ff, v0
	s_add_u32 s4, s4, s0
	v_lshl_add_u32 v2, s2, 5, v10
	s_addc_u32 s5, s5, s1
	v_ashrrev_i32_e32 v3, 31, v2
	v_bfe_u32 v11, v0, 10, 10
	s_cmp_gt_i32 s38, 0
	v_cmp_gt_i32_e64 s[0:1], s37, v2
	v_lshlrev_b64 v[2:3], 3, v[2:3]
	v_lshl_add_u64 v[0:1], s[4:5], 0, v[2:3]
	v_lshlrev_b32_e32 v12, 8, v10
	v_lshlrev_b32_e32 v4, 3, v11
	s_cselect_b64 s[4:5], -1, 0
	v_add_u32_e32 v13, v12, v4
	v_or_b32_e32 v14, 0x2000, v4
	v_cndmask_b32_e64 v4, 0, 1, s[4:5]
	v_add_u32_e32 v15, v14, v12
	v_lshl_add_u64 v[2:3], s[12:13], 0, v[2:3]
	v_cmp_ne_u32_e64 s[4:5], 1, v4
	v_add_u32_e32 v16, 0x800, v14
	v_add_u32_e32 v17, 0x1000, v14
	;; [unrolled: 1-line block ×3, first 2 shown]
	s_branch .LBB8_4
.LBB8_3:                                ;   in Loop: Header=BB8_4 Depth=1
	s_add_i32 s3, s3, s34
	s_cmp_gt_i32 s3, s33
	s_cbranch_scc1 .LBB8_13
.LBB8_4:                                ; =>This Loop Header: Depth=1
                                        ;     Child Loop BB8_7 Depth 2
	s_and_b64 vcc, exec, s[4:5]
	s_cbranch_vccnz .LBB8_3
; %bb.5:                                ;   in Loop: Header=BB8_4 Depth=1
	v_lshl_add_u32 v19, s3, 5, v11
	v_ashrrev_i32_e32 v4, 31, v19
	v_mul_lo_u32 v6, s30, v4
	v_mul_lo_u32 v7, s31, v19
	v_mad_u64_u32 v[4:5], s[16:17], s30, v19, 0
	v_cmp_gt_i32_e32 vcc, s38, v19
	v_add3_u32 v5, v5, v6, v7
	s_and_b64 s[12:13], s[0:1], vcc
	v_lshl_add_u64 v[4:5], v[4:5], 3, v[2:3]
	s_mov_b32 s2, 0
	s_branch .LBB8_7
.LBB8_6:                                ;   in Loop: Header=BB8_7 Depth=2
	s_or_b64 exec, exec, s[16:17]
	s_add_i32 s2, s2, 32
	s_cmp_ge_i32 s2, s38
	s_barrier
	s_cbranch_scc1 .LBB8_3
.LBB8_7:                                ;   Parent Loop BB8_4 Depth=1
                                        ; =>  This Inner Loop Header: Depth=2
	v_add_u32_e32 v20, s2, v11
	v_cmp_gt_i32_e32 vcc, s38, v20
	s_and_b64 s[18:19], s[0:1], vcc
	v_mov_b64_e32 v[6:7], 0
	v_mov_b64_e32 v[8:9], 0
	s_and_saveexec_b64 s[16:17], s[18:19]
	s_cbranch_execz .LBB8_9
; %bb.8:                                ;   in Loop: Header=BB8_7 Depth=2
	v_ashrrev_i32_e32 v8, 31, v20
	v_mul_lo_u32 v21, s23, v20
	v_mul_lo_u32 v22, s22, v8
	v_mad_u64_u32 v[8:9], s[18:19], s22, v20, 0
	v_add3_u32 v9, v9, v22, v21
	v_lshl_add_u64 v[8:9], v[8:9], 3, v[0:1]
	global_load_dwordx2 v[8:9], v[8:9], off
.LBB8_9:                                ;   in Loop: Header=BB8_7 Depth=2
	s_or_b64 exec, exec, s[16:17]
	s_waitcnt vmcnt(0)
	ds_write_b64 v13, v[8:9]
	v_add_u32_e32 v9, s2, v10
	v_cndmask_b32_e64 v8, v19, v9, s[6:7]
	v_cndmask_b32_e64 v20, v9, v19, s[6:7]
	v_cmp_gt_i32_e32 vcc, v8, v20
	s_nop 1
	v_cndmask_b32_e32 v8, v9, v19, vcc
	v_cndmask_b32_e32 v9, v19, v9, vcc
	v_max_i32_e32 v20, v8, v9
	v_cmp_gt_i32_e32 vcc, s38, v20
	s_and_saveexec_b64 s[16:17], vcc
	s_cbranch_execz .LBB8_11
; %bb.10:                               ;   in Loop: Header=BB8_7 Depth=2
	v_ashrrev_i32_e32 v6, 31, v9
	v_mul_lo_u32 v20, s15, v9
	v_mul_lo_u32 v21, s14, v6
	v_mad_u64_u32 v[6:7], s[18:19], s14, v9, 0
	v_add3_u32 v7, v7, v21, v20
	v_ashrrev_i32_e32 v9, 31, v8
	v_lshl_add_u64 v[6:7], v[6:7], 3, s[10:11]
	v_lshl_add_u64 v[6:7], v[8:9], 3, v[6:7]
	global_load_dwordx2 v[6:7], v[6:7], off
.LBB8_11:                               ;   in Loop: Header=BB8_7 Depth=2
	s_or_b64 exec, exec, s[16:17]
	s_waitcnt vmcnt(0)
	ds_write_b64 v15, v[6:7]
	s_waitcnt lgkmcnt(0)
	s_barrier
	s_and_saveexec_b64 s[16:17], s[12:13]
	s_cbranch_execz .LBB8_6
; %bb.12:                               ;   in Loop: Header=BB8_7 Depth=2
	global_load_dwordx2 v[44:45], v[4:5], off
	ds_read2_b64 v[6:9], v14 offset1:32
	ds_read_b128 v[20:23], v12
	ds_read_b128 v[24:27], v12 offset:16
	ds_read2_b64 v[28:31], v14 offset0:64 offset1:96
	ds_read_b128 v[32:35], v12 offset:32
	ds_read_b128 v[36:39], v12 offset:48
	ds_read2_b64 v[40:43], v14 offset0:128 offset1:160
	s_waitcnt lgkmcnt(5)
	v_fma_f64 v[46:47], v[20:21], v[6:7], 0
	v_fmac_f64_e32 v[46:47], v[22:23], v[8:9]
	ds_read2_b64 v[6:9], v14 offset0:192 offset1:224
	s_waitcnt lgkmcnt(4)
	v_fmac_f64_e32 v[46:47], v[24:25], v[28:29]
	v_fmac_f64_e32 v[46:47], v[26:27], v[30:31]
	s_waitcnt lgkmcnt(1)
	v_fmac_f64_e32 v[46:47], v[32:33], v[40:41]
	v_fmac_f64_e32 v[46:47], v[34:35], v[42:43]
	ds_read_b128 v[20:23], v12 offset:64
	ds_read2_b64 v[24:27], v16 offset1:32
	s_waitcnt lgkmcnt(2)
	v_fmac_f64_e32 v[46:47], v[36:37], v[6:7]
	v_fmac_f64_e32 v[46:47], v[38:39], v[8:9]
	ds_read_b128 v[6:9], v12 offset:80
	ds_read2_b64 v[28:31], v16 offset0:64 offset1:96
	s_waitcnt lgkmcnt(2)
	v_fmac_f64_e32 v[46:47], v[20:21], v[24:25]
	v_fmac_f64_e32 v[46:47], v[22:23], v[26:27]
	ds_read_b128 v[20:23], v12 offset:96
	ds_read2_b64 v[24:27], v16 offset0:128 offset1:160
	;; [unrolled: 5-line block ×3, first 2 shown]
	s_waitcnt lgkmcnt(2)
	v_fmac_f64_e32 v[46:47], v[20:21], v[24:25]
	v_fmac_f64_e32 v[46:47], v[22:23], v[26:27]
	ds_read_b128 v[20:23], v12 offset:128
	ds_read2_b64 v[24:27], v17 offset1:32
	s_waitcnt lgkmcnt(2)
	v_fmac_f64_e32 v[46:47], v[6:7], v[28:29]
	v_fmac_f64_e32 v[46:47], v[8:9], v[30:31]
	ds_read_b128 v[6:9], v12 offset:144
	ds_read2_b64 v[28:31], v17 offset0:64 offset1:96
	s_waitcnt lgkmcnt(2)
	v_fmac_f64_e32 v[46:47], v[20:21], v[24:25]
	v_fmac_f64_e32 v[46:47], v[22:23], v[26:27]
	ds_read_b128 v[20:23], v12 offset:160
	ds_read2_b64 v[24:27], v17 offset0:128 offset1:160
	;; [unrolled: 5-line block ×3, first 2 shown]
	ds_read_b128 v[32:35], v12 offset:192
	ds_read2_b64 v[36:39], v18 offset1:32
	s_waitcnt lgkmcnt(4)
	v_fmac_f64_e32 v[46:47], v[20:21], v[24:25]
	v_fmac_f64_e32 v[46:47], v[22:23], v[26:27]
	s_waitcnt lgkmcnt(2)
	v_fmac_f64_e32 v[46:47], v[6:7], v[28:29]
	v_fmac_f64_e32 v[46:47], v[8:9], v[30:31]
	ds_read_b128 v[6:9], v12 offset:208
	s_waitcnt lgkmcnt(1)
	v_fmac_f64_e32 v[46:47], v[32:33], v[36:37]
	v_fmac_f64_e32 v[46:47], v[34:35], v[38:39]
	ds_read2_b64 v[20:23], v18 offset0:64 offset1:96
	ds_read2_b64 v[24:27], v18 offset0:128 offset1:160
	ds_read_b128 v[28:31], v12 offset:224
	ds_read_b128 v[32:35], v12 offset:240
	ds_read2_b64 v[36:39], v18 offset0:192 offset1:224
	s_waitcnt lgkmcnt(4)
	v_fmac_f64_e32 v[46:47], v[6:7], v[20:21]
	v_fmac_f64_e32 v[46:47], v[8:9], v[22:23]
	s_waitcnt lgkmcnt(2)
	v_fmac_f64_e32 v[46:47], v[28:29], v[24:25]
	v_fmac_f64_e32 v[46:47], v[30:31], v[26:27]
	;; [unrolled: 3-line block ×3, first 2 shown]
	s_waitcnt vmcnt(0)
	v_fmac_f64_e32 v[44:45], s[8:9], v[46:47]
	global_store_dwordx2 v[4:5], v[44:45], off
	s_branch .LBB8_6
.LBB8_13:
	s_endpgm
	.section	.rodata,"a",@progbits
	.p2align	6, 0x0
	.amdhsa_kernel _ZL24rocblas_symm_hemm_kernelILb0ELb1ELi32EPKdS1_PdEvbiiT2_T3_lllS4_lllT4_llli
		.amdhsa_group_segment_fixed_size 16384
		.amdhsa_private_segment_fixed_size 0
		.amdhsa_kernarg_size 384
		.amdhsa_user_sgpr_count 2
		.amdhsa_user_sgpr_dispatch_ptr 0
		.amdhsa_user_sgpr_queue_ptr 0
		.amdhsa_user_sgpr_kernarg_segment_ptr 1
		.amdhsa_user_sgpr_dispatch_id 0
		.amdhsa_user_sgpr_kernarg_preload_length 0
		.amdhsa_user_sgpr_kernarg_preload_offset 0
		.amdhsa_user_sgpr_private_segment_size 0
		.amdhsa_uses_dynamic_stack 0
		.amdhsa_enable_private_segment 0
		.amdhsa_system_sgpr_workgroup_id_x 1
		.amdhsa_system_sgpr_workgroup_id_y 1
		.amdhsa_system_sgpr_workgroup_id_z 1
		.amdhsa_system_sgpr_workgroup_info 0
		.amdhsa_system_vgpr_workitem_id 1
		.amdhsa_next_free_vgpr 48
		.amdhsa_next_free_sgpr 40
		.amdhsa_accum_offset 48
		.amdhsa_reserve_vcc 1
		.amdhsa_float_round_mode_32 0
		.amdhsa_float_round_mode_16_64 0
		.amdhsa_float_denorm_mode_32 3
		.amdhsa_float_denorm_mode_16_64 3
		.amdhsa_dx10_clamp 1
		.amdhsa_ieee_mode 1
		.amdhsa_fp16_overflow 0
		.amdhsa_tg_split 0
		.amdhsa_exception_fp_ieee_invalid_op 0
		.amdhsa_exception_fp_denorm_src 0
		.amdhsa_exception_fp_ieee_div_zero 0
		.amdhsa_exception_fp_ieee_overflow 0
		.amdhsa_exception_fp_ieee_underflow 0
		.amdhsa_exception_fp_ieee_inexact 0
		.amdhsa_exception_int_div_zero 0
	.end_amdhsa_kernel
	.section	.text._ZL24rocblas_symm_hemm_kernelILb0ELb1ELi32EPKdS1_PdEvbiiT2_T3_lllS4_lllT4_llli,"axG",@progbits,_ZL24rocblas_symm_hemm_kernelILb0ELb1ELi32EPKdS1_PdEvbiiT2_T3_lllS4_lllT4_llli,comdat
.Lfunc_end8:
	.size	_ZL24rocblas_symm_hemm_kernelILb0ELb1ELi32EPKdS1_PdEvbiiT2_T3_lllS4_lllT4_llli, .Lfunc_end8-_ZL24rocblas_symm_hemm_kernelILb0ELb1ELi32EPKdS1_PdEvbiiT2_T3_lllS4_lllT4_llli
                                        ; -- End function
	.set _ZL24rocblas_symm_hemm_kernelILb0ELb1ELi32EPKdS1_PdEvbiiT2_T3_lllS4_lllT4_llli.num_vgpr, 48
	.set _ZL24rocblas_symm_hemm_kernelILb0ELb1ELi32EPKdS1_PdEvbiiT2_T3_lllS4_lllT4_llli.num_agpr, 0
	.set _ZL24rocblas_symm_hemm_kernelILb0ELb1ELi32EPKdS1_PdEvbiiT2_T3_lllS4_lllT4_llli.numbered_sgpr, 40
	.set _ZL24rocblas_symm_hemm_kernelILb0ELb1ELi32EPKdS1_PdEvbiiT2_T3_lllS4_lllT4_llli.num_named_barrier, 0
	.set _ZL24rocblas_symm_hemm_kernelILb0ELb1ELi32EPKdS1_PdEvbiiT2_T3_lllS4_lllT4_llli.private_seg_size, 0
	.set _ZL24rocblas_symm_hemm_kernelILb0ELb1ELi32EPKdS1_PdEvbiiT2_T3_lllS4_lllT4_llli.uses_vcc, 1
	.set _ZL24rocblas_symm_hemm_kernelILb0ELb1ELi32EPKdS1_PdEvbiiT2_T3_lllS4_lllT4_llli.uses_flat_scratch, 0
	.set _ZL24rocblas_symm_hemm_kernelILb0ELb1ELi32EPKdS1_PdEvbiiT2_T3_lllS4_lllT4_llli.has_dyn_sized_stack, 0
	.set _ZL24rocblas_symm_hemm_kernelILb0ELb1ELi32EPKdS1_PdEvbiiT2_T3_lllS4_lllT4_llli.has_recursion, 0
	.set _ZL24rocblas_symm_hemm_kernelILb0ELb1ELi32EPKdS1_PdEvbiiT2_T3_lllS4_lllT4_llli.has_indirect_call, 0
	.section	.AMDGPU.csdata,"",@progbits
; Kernel info:
; codeLenInByte = 1208
; TotalNumSgprs: 46
; NumVgprs: 48
; NumAgprs: 0
; TotalNumVgprs: 48
; ScratchSize: 0
; MemoryBound: 0
; FloatMode: 240
; IeeeMode: 1
; LDSByteSize: 16384 bytes/workgroup (compile time only)
; SGPRBlocks: 5
; VGPRBlocks: 5
; NumSGPRsForWavesPerEU: 46
; NumVGPRsForWavesPerEU: 48
; AccumOffset: 48
; Occupancy: 8
; WaveLimiterHint : 0
; COMPUTE_PGM_RSRC2:SCRATCH_EN: 0
; COMPUTE_PGM_RSRC2:USER_SGPR: 2
; COMPUTE_PGM_RSRC2:TRAP_HANDLER: 0
; COMPUTE_PGM_RSRC2:TGID_X_EN: 1
; COMPUTE_PGM_RSRC2:TGID_Y_EN: 1
; COMPUTE_PGM_RSRC2:TGID_Z_EN: 1
; COMPUTE_PGM_RSRC2:TIDIG_COMP_CNT: 1
; COMPUTE_PGM_RSRC3_GFX90A:ACCUM_OFFSET: 11
; COMPUTE_PGM_RSRC3_GFX90A:TG_SPLIT: 0
	.section	.text._ZL25rocblas_symm_scale_kernelILi128ELi8EdPdEviiT1_T2_llli,"axG",@progbits,_ZL25rocblas_symm_scale_kernelILi128ELi8EdPdEviiT1_T2_llli,comdat
	.globl	_ZL25rocblas_symm_scale_kernelILi128ELi8EdPdEviiT1_T2_llli ; -- Begin function _ZL25rocblas_symm_scale_kernelILi128ELi8EdPdEviiT1_T2_llli
	.p2align	8
	.type	_ZL25rocblas_symm_scale_kernelILi128ELi8EdPdEviiT1_T2_llli,@function
_ZL25rocblas_symm_scale_kernelILi128ELi8EdPdEviiT1_T2_llli: ; @_ZL25rocblas_symm_scale_kernelILi128ELi8EdPdEviiT1_T2_llli
; %bb.0:
	s_load_dwordx8 s[8:15], s[0:1], 0x8
	s_waitcnt lgkmcnt(0)
	v_cmp_eq_f64_e64 s[6:7], s[8:9], 1.0
	s_and_b64 vcc, exec, s[6:7]
	s_cbranch_vccnz .LBB9_7
; %bb.1:
	s_load_dwordx2 s[16:17], s[0:1], 0x0
	v_and_b32_e32 v1, 0x3ff, v0
	v_bfe_u32 v0, v0, 10, 10
	v_lshl_add_u32 v2, s2, 7, v1
	v_lshl_add_u32 v0, s3, 3, v0
	v_mov_b32_e32 v1, 0
	s_waitcnt lgkmcnt(0)
	s_ashr_i32 s7, s17, 31
	s_mov_b32 s6, s17
	v_cmp_gt_u32_e32 vcc, s16, v2
	v_cmp_gt_i64_e64 s[2:3], s[6:7], v[0:1]
	s_and_b64 s[2:3], vcc, s[2:3]
	s_and_saveexec_b64 s[16:17], s[2:3]
	s_cbranch_execz .LBB9_7
; %bb.2:
	s_load_dword s5, s[0:1], 0x3c
	s_load_dwordx2 s[18:19], s[0:1], 0x28
	v_mov_b32_e32 v3, v1
	s_mov_b64 s[2:3], 0
	s_mov_b32 s17, 0
	s_waitcnt lgkmcnt(0)
	s_lshl_b32 s16, s5, 3
	s_mul_i32 s0, s19, s4
	s_mul_hi_u32 s1, s18, s4
	s_add_i32 s1, s1, s0
	s_mul_i32 s0, s18, s4
	v_mad_u64_u32 v[4:5], s[4:5], s14, v0, 0
	v_mov_b32_e32 v6, v5
	v_mad_u64_u32 v[6:7], s[4:5], s15, v0, v[6:7]
	s_lshl_b64 s[0:1], s[0:1], 3
	s_lshl_b64 s[4:5], s[12:13], 3
	s_add_u32 s0, s4, s0
	v_mov_b32_e32 v5, v6
	s_addc_u32 s1, s5, s1
	v_lshl_add_u64 v[4:5], v[4:5], 3, s[0:1]
	s_mul_i32 s0, s15, s16
	s_mul_hi_u32 s1, s14, s16
	s_add_i32 s1, s1, s0
	s_mul_i32 s0, s14, s16
	s_lshl_b64 s[4:5], s[0:1], 3
	v_cmp_neq_f64_e64 s[0:1], s[8:9], 0
	v_lshl_add_u64 v[2:3], v[2:3], 3, v[4:5]
	v_lshl_add_u64 v[2:3], s[10:11], 0, v[2:3]
	v_cndmask_b32_e64 v4, 0, 1, s[0:1]
	v_cmp_ne_u32_e64 s[0:1], 1, v4
	s_branch .LBB9_5
.LBB9_3:                                ;   in Loop: Header=BB9_5 Depth=1
	global_load_dwordx2 v[4:5], v[2:3], off
	s_waitcnt vmcnt(0)
	v_mul_f64 v[4:5], s[8:9], v[4:5]
.LBB9_4:                                ;   in Loop: Header=BB9_5 Depth=1
	v_lshl_add_u64 v[0:1], v[0:1], 0, s[16:17]
	v_cmp_le_i64_e32 vcc, s[6:7], v[0:1]
	global_store_dwordx2 v[2:3], v[4:5], off
	s_or_b64 s[2:3], vcc, s[2:3]
	v_lshl_add_u64 v[2:3], v[2:3], 0, s[4:5]
	s_andn2_b64 exec, exec, s[2:3]
	s_cbranch_execz .LBB9_7
.LBB9_5:                                ; =>This Inner Loop Header: Depth=1
	s_and_b64 vcc, exec, s[0:1]
	s_cbranch_vccz .LBB9_3
; %bb.6:                                ;   in Loop: Header=BB9_5 Depth=1
	v_mov_b64_e32 v[4:5], 0
	s_branch .LBB9_4
.LBB9_7:
	s_endpgm
	.section	.rodata,"a",@progbits
	.p2align	6, 0x0
	.amdhsa_kernel _ZL25rocblas_symm_scale_kernelILi128ELi8EdPdEviiT1_T2_llli
		.amdhsa_group_segment_fixed_size 0
		.amdhsa_private_segment_fixed_size 0
		.amdhsa_kernarg_size 312
		.amdhsa_user_sgpr_count 2
		.amdhsa_user_sgpr_dispatch_ptr 0
		.amdhsa_user_sgpr_queue_ptr 0
		.amdhsa_user_sgpr_kernarg_segment_ptr 1
		.amdhsa_user_sgpr_dispatch_id 0
		.amdhsa_user_sgpr_kernarg_preload_length 0
		.amdhsa_user_sgpr_kernarg_preload_offset 0
		.amdhsa_user_sgpr_private_segment_size 0
		.amdhsa_uses_dynamic_stack 0
		.amdhsa_enable_private_segment 0
		.amdhsa_system_sgpr_workgroup_id_x 1
		.amdhsa_system_sgpr_workgroup_id_y 1
		.amdhsa_system_sgpr_workgroup_id_z 1
		.amdhsa_system_sgpr_workgroup_info 0
		.amdhsa_system_vgpr_workitem_id 1
		.amdhsa_next_free_vgpr 8
		.amdhsa_next_free_sgpr 20
		.amdhsa_accum_offset 8
		.amdhsa_reserve_vcc 1
		.amdhsa_float_round_mode_32 0
		.amdhsa_float_round_mode_16_64 0
		.amdhsa_float_denorm_mode_32 3
		.amdhsa_float_denorm_mode_16_64 3
		.amdhsa_dx10_clamp 1
		.amdhsa_ieee_mode 1
		.amdhsa_fp16_overflow 0
		.amdhsa_tg_split 0
		.amdhsa_exception_fp_ieee_invalid_op 0
		.amdhsa_exception_fp_denorm_src 0
		.amdhsa_exception_fp_ieee_div_zero 0
		.amdhsa_exception_fp_ieee_overflow 0
		.amdhsa_exception_fp_ieee_underflow 0
		.amdhsa_exception_fp_ieee_inexact 0
		.amdhsa_exception_int_div_zero 0
	.end_amdhsa_kernel
	.section	.text._ZL25rocblas_symm_scale_kernelILi128ELi8EdPdEviiT1_T2_llli,"axG",@progbits,_ZL25rocblas_symm_scale_kernelILi128ELi8EdPdEviiT1_T2_llli,comdat
.Lfunc_end9:
	.size	_ZL25rocblas_symm_scale_kernelILi128ELi8EdPdEviiT1_T2_llli, .Lfunc_end9-_ZL25rocblas_symm_scale_kernelILi128ELi8EdPdEviiT1_T2_llli
                                        ; -- End function
	.set _ZL25rocblas_symm_scale_kernelILi128ELi8EdPdEviiT1_T2_llli.num_vgpr, 8
	.set _ZL25rocblas_symm_scale_kernelILi128ELi8EdPdEviiT1_T2_llli.num_agpr, 0
	.set _ZL25rocblas_symm_scale_kernelILi128ELi8EdPdEviiT1_T2_llli.numbered_sgpr, 20
	.set _ZL25rocblas_symm_scale_kernelILi128ELi8EdPdEviiT1_T2_llli.num_named_barrier, 0
	.set _ZL25rocblas_symm_scale_kernelILi128ELi8EdPdEviiT1_T2_llli.private_seg_size, 0
	.set _ZL25rocblas_symm_scale_kernelILi128ELi8EdPdEviiT1_T2_llli.uses_vcc, 1
	.set _ZL25rocblas_symm_scale_kernelILi128ELi8EdPdEviiT1_T2_llli.uses_flat_scratch, 0
	.set _ZL25rocblas_symm_scale_kernelILi128ELi8EdPdEviiT1_T2_llli.has_dyn_sized_stack, 0
	.set _ZL25rocblas_symm_scale_kernelILi128ELi8EdPdEviiT1_T2_llli.has_recursion, 0
	.set _ZL25rocblas_symm_scale_kernelILi128ELi8EdPdEviiT1_T2_llli.has_indirect_call, 0
	.section	.AMDGPU.csdata,"",@progbits
; Kernel info:
; codeLenInByte = 352
; TotalNumSgprs: 26
; NumVgprs: 8
; NumAgprs: 0
; TotalNumVgprs: 8
; ScratchSize: 0
; MemoryBound: 1
; FloatMode: 240
; IeeeMode: 1
; LDSByteSize: 0 bytes/workgroup (compile time only)
; SGPRBlocks: 3
; VGPRBlocks: 0
; NumSGPRsForWavesPerEU: 26
; NumVGPRsForWavesPerEU: 8
; AccumOffset: 8
; Occupancy: 8
; WaveLimiterHint : 0
; COMPUTE_PGM_RSRC2:SCRATCH_EN: 0
; COMPUTE_PGM_RSRC2:USER_SGPR: 2
; COMPUTE_PGM_RSRC2:TRAP_HANDLER: 0
; COMPUTE_PGM_RSRC2:TGID_X_EN: 1
; COMPUTE_PGM_RSRC2:TGID_Y_EN: 1
; COMPUTE_PGM_RSRC2:TGID_Z_EN: 1
; COMPUTE_PGM_RSRC2:TIDIG_COMP_CNT: 1
; COMPUTE_PGM_RSRC3_GFX90A:ACCUM_OFFSET: 1
; COMPUTE_PGM_RSRC3_GFX90A:TG_SPLIT: 0
	.section	.text._ZL24rocblas_symm_hemm_kernelILb0ELb0ELi32EdPKdPdEvbiiT2_T3_lllS4_lllT4_llli,"axG",@progbits,_ZL24rocblas_symm_hemm_kernelILb0ELb0ELi32EdPKdPdEvbiiT2_T3_lllS4_lllT4_llli,comdat
	.globl	_ZL24rocblas_symm_hemm_kernelILb0ELb0ELi32EdPKdPdEvbiiT2_T3_lllS4_lllT4_llli ; -- Begin function _ZL24rocblas_symm_hemm_kernelILb0ELb0ELi32EdPKdPdEvbiiT2_T3_lllS4_lllT4_llli
	.p2align	8
	.type	_ZL24rocblas_symm_hemm_kernelILb0ELb0ELi32EdPKdPdEvbiiT2_T3_lllS4_lllT4_llli,@function
_ZL24rocblas_symm_hemm_kernelILb0ELb0ELi32EdPKdPdEvbiiT2_T3_lllS4_lllT4_llli: ; @_ZL24rocblas_symm_hemm_kernelILb0ELb0ELi32EdPKdPdEvbiiT2_T3_lllS4_lllT4_llli
; %bb.0:
	s_load_dwordx16 s[12:27], s[0:1], 0x10
	s_waitcnt lgkmcnt(0)
	v_cmp_eq_f64_e64 s[6:7], s[12:13], 0
	s_and_b64 vcc, exec, s[6:7]
	s_cbranch_vccnz .LBB10_13
; %bb.1:
	s_load_dwordx4 s[28:31], s[0:1], 0x0
	s_waitcnt lgkmcnt(0)
	s_add_i32 s5, s30, -1
	s_ashr_i32 s6, s5, 31
	s_lshr_b32 s6, s6, 27
	s_add_i32 s5, s5, s6
	s_ashr_i32 s31, s5, 5
	s_cmp_gt_i32 s3, s31
	s_cbranch_scc1 .LBB10_13
; %bb.2:
	s_mul_i32 s5, s21, s4
	s_mul_hi_u32 s6, s20, s4
	s_load_dwordx8 s[36:43], s[0:1], 0x50
	s_load_dwordx2 s[8:9], s[0:1], 0x70
	s_add_i32 s7, s6, s5
	s_mul_i32 s6, s20, s4
	s_lshl_b64 s[6:7], s[6:7], 3
	s_add_u32 s5, s14, s6
	s_addc_u32 s11, s15, s7
	s_lshl_b64 s[6:7], s[16:17], 3
	s_add_u32 s10, s5, s6
	s_waitcnt lgkmcnt(0)
	s_mul_i32 s5, s37, s4
	s_mul_hi_u32 s6, s36, s4
	s_addc_u32 s11, s11, s7
	s_add_i32 s7, s6, s5
	s_mul_i32 s6, s36, s4
	s_lshl_b64 s[6:7], s[6:7], 3
	s_add_u32 s5, s22, s6
	s_addc_u32 s15, s23, s7
	s_lshl_b64 s[6:7], s[24:25], 3
	s_add_u32 s14, s5, s6
	s_addc_u32 s15, s15, s7
	s_bitcmp1_b32 s28, 0
	s_load_dword s22, s[0:1], 0x84
	s_mul_i32 s0, s9, s4
	s_mul_hi_u32 s1, s8, s4
	s_cselect_b64 s[6:7], -1, 0
	s_add_i32 s1, s1, s0
	s_mul_i32 s0, s8, s4
	s_lshl_b64 s[0:1], s[0:1], 3
	s_add_u32 s4, s38, s0
	s_addc_u32 s5, s39, s1
	s_lshl_b64 s[0:1], s[40:41], 3
	s_add_u32 s4, s4, s0
	v_and_b32_e32 v14, 0x3ff, v0
	s_addc_u32 s5, s5, s1
	v_lshl_add_u32 v2, s2, 5, v14
	v_bfe_u32 v15, v0, 10, 10
	s_cmp_gt_i32 s29, 0
	v_lshlrev_b32_e32 v16, 8, v14
	v_lshlrev_b32_e32 v0, 3, v15
	v_ashrrev_i32_e32 v3, 31, v2
	v_add_u32_e32 v17, v16, v0
	v_or_b32_e32 v18, 0x2000, v0
	v_lshl_add_u64 v[0:1], v[2:3], 3, s[4:5]
	s_cselect_b64 s[4:5], -1, 0
	v_cndmask_b32_e64 v3, 0, 1, s[4:5]
	v_add_u32_e32 v19, v18, v16
	v_cmp_gt_i32_e64 s[0:1], s29, v2
	v_cmp_ne_u32_e64 s[4:5], 1, v3
	v_add_u32_e32 v3, 0x800, v18
	v_add_u32_e32 v20, 0x1000, v18
	;; [unrolled: 1-line block ×3, first 2 shown]
	s_branch .LBB10_4
.LBB10_3:                               ;   in Loop: Header=BB10_4 Depth=1
	s_waitcnt lgkmcnt(0)
	s_add_i32 s3, s3, s22
	s_cmp_gt_i32 s3, s31
	s_cbranch_scc1 .LBB10_13
.LBB10_4:                               ; =>This Loop Header: Depth=1
                                        ;     Child Loop BB10_7 Depth 2
	s_and_b64 vcc, exec, s[4:5]
	s_cbranch_vccnz .LBB10_3
; %bb.5:                                ;   in Loop: Header=BB10_4 Depth=1
	v_lshl_add_u32 v6, s3, 5, v15
	v_ashrrev_i32_e32 v7, 31, v6
	v_mul_lo_u32 v8, s26, v7
	v_mul_lo_u32 v9, s27, v6
	v_mad_u64_u32 v[4:5], s[8:9], s26, v6, 0
	v_cmp_gt_i32_e32 vcc, s30, v6
	v_add3_u32 v5, v5, v8, v9
	v_mul_lo_u32 v8, s42, v7
	v_mul_lo_u32 v9, s43, v6
	v_mad_u64_u32 v[6:7], s[8:9], s42, v6, 0
	v_add3_u32 v7, v7, v8, v9
	v_lshl_add_u64 v[4:5], v[4:5], 3, s[14:15]
	s_and_b64 s[16:17], s[0:1], vcc
	v_lshl_add_u64 v[6:7], v[6:7], 3, v[0:1]
	s_mov_b32 s2, 0
	s_branch .LBB10_7
.LBB10_6:                               ;   in Loop: Header=BB10_7 Depth=2
	s_or_b64 exec, exec, s[8:9]
	s_add_i32 s2, s2, 32
	s_cmp_ge_i32 s2, s29
	s_barrier
	s_cbranch_scc1 .LBB10_3
.LBB10_7:                               ;   Parent Loop BB10_4 Depth=1
                                        ; =>  This Inner Loop Header: Depth=2
	v_add_u32_e32 v8, s2, v15
	v_cndmask_b32_e64 v9, v8, v2, s[6:7]
	v_cndmask_b32_e64 v10, v2, v8, s[6:7]
	v_cmp_gt_i32_e64 s[8:9], v9, v10
	v_mov_b64_e32 v[12:13], 0
	s_nop 0
	v_cndmask_b32_e64 v10, v2, v8, s[8:9]
	v_cndmask_b32_e64 v11, v8, v2, s[8:9]
	v_max_i32_e32 v8, v10, v11
	v_cmp_gt_i32_e64 s[8:9], s29, v8
	v_mov_b64_e32 v[8:9], 0
	s_and_saveexec_b64 s[20:21], s[8:9]
	s_cbranch_execz .LBB10_9
; %bb.8:                                ;   in Loop: Header=BB10_7 Depth=2
	v_ashrrev_i32_e32 v12, 31, v11
	v_mul_lo_u32 v22, s19, v11
	v_mul_lo_u32 v23, s18, v12
	v_mad_u64_u32 v[12:13], s[8:9], s18, v11, 0
	v_add3_u32 v13, v13, v23, v22
	v_ashrrev_i32_e32 v11, 31, v10
	v_lshl_add_u64 v[12:13], v[12:13], 3, s[10:11]
	v_lshl_add_u64 v[10:11], v[10:11], 3, v[12:13]
	global_load_dwordx2 v[12:13], v[10:11], off
.LBB10_9:                               ;   in Loop: Header=BB10_7 Depth=2
	s_or_b64 exec, exec, s[20:21]
	v_add_u32_e32 v10, s2, v14
	v_cmp_gt_i32_e64 s[8:9], s29, v10
	s_and_b64 s[20:21], s[8:9], vcc
	s_waitcnt vmcnt(0)
	ds_write_b64 v17, v[12:13]
	s_and_saveexec_b64 s[8:9], s[20:21]
	s_cbranch_execz .LBB10_11
; %bb.10:                               ;   in Loop: Header=BB10_7 Depth=2
	v_ashrrev_i32_e32 v11, 31, v10
	v_lshl_add_u64 v[8:9], v[10:11], 3, v[4:5]
	global_load_dwordx2 v[8:9], v[8:9], off
.LBB10_11:                              ;   in Loop: Header=BB10_7 Depth=2
	s_or_b64 exec, exec, s[8:9]
	s_waitcnt vmcnt(0)
	ds_write_b64 v19, v[8:9]
	s_waitcnt lgkmcnt(0)
	s_barrier
	s_and_saveexec_b64 s[8:9], s[16:17]
	s_cbranch_execz .LBB10_6
; %bb.12:                               ;   in Loop: Header=BB10_7 Depth=2
	global_load_dwordx2 v[12:13], v[6:7], off
	ds_read2_b64 v[8:11], v18 offset1:32
	ds_read_b128 v[22:25], v16
	ds_read_b128 v[26:29], v16 offset:16
	ds_read2_b64 v[30:33], v18 offset0:64 offset1:96
	ds_read_b128 v[34:37], v16 offset:32
	ds_read_b128 v[38:41], v16 offset:48
	ds_read2_b64 v[42:45], v18 offset0:128 offset1:160
	s_waitcnt lgkmcnt(5)
	v_fma_f64 v[46:47], v[22:23], v[8:9], 0
	v_fmac_f64_e32 v[46:47], v[24:25], v[10:11]
	ds_read2_b64 v[8:11], v18 offset0:192 offset1:224
	s_waitcnt lgkmcnt(4)
	v_fmac_f64_e32 v[46:47], v[26:27], v[30:31]
	v_fmac_f64_e32 v[46:47], v[28:29], v[32:33]
	s_waitcnt lgkmcnt(1)
	v_fmac_f64_e32 v[46:47], v[34:35], v[42:43]
	v_fmac_f64_e32 v[46:47], v[36:37], v[44:45]
	ds_read_b128 v[22:25], v16 offset:64
	ds_read2_b64 v[26:29], v3 offset1:32
	s_waitcnt lgkmcnt(2)
	v_fmac_f64_e32 v[46:47], v[38:39], v[8:9]
	v_fmac_f64_e32 v[46:47], v[40:41], v[10:11]
	ds_read_b128 v[8:11], v16 offset:80
	ds_read2_b64 v[30:33], v3 offset0:64 offset1:96
	s_waitcnt lgkmcnt(2)
	v_fmac_f64_e32 v[46:47], v[22:23], v[26:27]
	v_fmac_f64_e32 v[46:47], v[24:25], v[28:29]
	ds_read_b128 v[22:25], v16 offset:96
	ds_read2_b64 v[26:29], v3 offset0:128 offset1:160
	;; [unrolled: 5-line block ×3, first 2 shown]
	s_waitcnt lgkmcnt(2)
	v_fmac_f64_e32 v[46:47], v[22:23], v[26:27]
	v_fmac_f64_e32 v[46:47], v[24:25], v[28:29]
	ds_read_b128 v[22:25], v16 offset:128
	ds_read2_b64 v[26:29], v20 offset1:32
	s_waitcnt lgkmcnt(2)
	v_fmac_f64_e32 v[46:47], v[8:9], v[30:31]
	v_fmac_f64_e32 v[46:47], v[10:11], v[32:33]
	ds_read_b128 v[8:11], v16 offset:144
	ds_read2_b64 v[30:33], v20 offset0:64 offset1:96
	s_waitcnt lgkmcnt(2)
	v_fmac_f64_e32 v[46:47], v[22:23], v[26:27]
	v_fmac_f64_e32 v[46:47], v[24:25], v[28:29]
	ds_read_b128 v[22:25], v16 offset:160
	ds_read2_b64 v[26:29], v20 offset0:128 offset1:160
	s_waitcnt lgkmcnt(2)
	v_fmac_f64_e32 v[46:47], v[8:9], v[30:31]
	v_fmac_f64_e32 v[46:47], v[10:11], v[32:33]
	ds_read_b128 v[8:11], v16 offset:176
	ds_read2_b64 v[30:33], v20 offset0:192 offset1:224
	ds_read_b128 v[34:37], v16 offset:192
	ds_read2_b64 v[38:41], v21 offset1:32
	s_waitcnt lgkmcnt(4)
	v_fmac_f64_e32 v[46:47], v[22:23], v[26:27]
	v_fmac_f64_e32 v[46:47], v[24:25], v[28:29]
	s_waitcnt lgkmcnt(2)
	v_fmac_f64_e32 v[46:47], v[8:9], v[30:31]
	v_fmac_f64_e32 v[46:47], v[10:11], v[32:33]
	ds_read_b128 v[8:11], v16 offset:208
	s_waitcnt lgkmcnt(1)
	v_fmac_f64_e32 v[46:47], v[34:35], v[38:39]
	v_fmac_f64_e32 v[46:47], v[36:37], v[40:41]
	ds_read2_b64 v[22:25], v21 offset0:64 offset1:96
	ds_read2_b64 v[26:29], v21 offset0:128 offset1:160
	ds_read_b128 v[30:33], v16 offset:224
	ds_read_b128 v[34:37], v16 offset:240
	ds_read2_b64 v[38:41], v21 offset0:192 offset1:224
	s_waitcnt lgkmcnt(4)
	v_fmac_f64_e32 v[46:47], v[8:9], v[22:23]
	v_fmac_f64_e32 v[46:47], v[10:11], v[24:25]
	s_waitcnt lgkmcnt(2)
	v_fmac_f64_e32 v[46:47], v[30:31], v[26:27]
	v_fmac_f64_e32 v[46:47], v[32:33], v[28:29]
	;; [unrolled: 3-line block ×3, first 2 shown]
	s_waitcnt vmcnt(0)
	v_fmac_f64_e32 v[12:13], s[12:13], v[46:47]
	global_store_dwordx2 v[6:7], v[12:13], off
	s_branch .LBB10_6
.LBB10_13:
	s_endpgm
	.section	.rodata,"a",@progbits
	.p2align	6, 0x0
	.amdhsa_kernel _ZL24rocblas_symm_hemm_kernelILb0ELb0ELi32EdPKdPdEvbiiT2_T3_lllS4_lllT4_llli
		.amdhsa_group_segment_fixed_size 16384
		.amdhsa_private_segment_fixed_size 0
		.amdhsa_kernarg_size 384
		.amdhsa_user_sgpr_count 2
		.amdhsa_user_sgpr_dispatch_ptr 0
		.amdhsa_user_sgpr_queue_ptr 0
		.amdhsa_user_sgpr_kernarg_segment_ptr 1
		.amdhsa_user_sgpr_dispatch_id 0
		.amdhsa_user_sgpr_kernarg_preload_length 0
		.amdhsa_user_sgpr_kernarg_preload_offset 0
		.amdhsa_user_sgpr_private_segment_size 0
		.amdhsa_uses_dynamic_stack 0
		.amdhsa_enable_private_segment 0
		.amdhsa_system_sgpr_workgroup_id_x 1
		.amdhsa_system_sgpr_workgroup_id_y 1
		.amdhsa_system_sgpr_workgroup_id_z 1
		.amdhsa_system_sgpr_workgroup_info 0
		.amdhsa_system_vgpr_workitem_id 1
		.amdhsa_next_free_vgpr 48
		.amdhsa_next_free_sgpr 44
		.amdhsa_accum_offset 48
		.amdhsa_reserve_vcc 1
		.amdhsa_float_round_mode_32 0
		.amdhsa_float_round_mode_16_64 0
		.amdhsa_float_denorm_mode_32 3
		.amdhsa_float_denorm_mode_16_64 3
		.amdhsa_dx10_clamp 1
		.amdhsa_ieee_mode 1
		.amdhsa_fp16_overflow 0
		.amdhsa_tg_split 0
		.amdhsa_exception_fp_ieee_invalid_op 0
		.amdhsa_exception_fp_denorm_src 0
		.amdhsa_exception_fp_ieee_div_zero 0
		.amdhsa_exception_fp_ieee_overflow 0
		.amdhsa_exception_fp_ieee_underflow 0
		.amdhsa_exception_fp_ieee_inexact 0
		.amdhsa_exception_int_div_zero 0
	.end_amdhsa_kernel
	.section	.text._ZL24rocblas_symm_hemm_kernelILb0ELb0ELi32EdPKdPdEvbiiT2_T3_lllS4_lllT4_llli,"axG",@progbits,_ZL24rocblas_symm_hemm_kernelILb0ELb0ELi32EdPKdPdEvbiiT2_T3_lllS4_lllT4_llli,comdat
.Lfunc_end10:
	.size	_ZL24rocblas_symm_hemm_kernelILb0ELb0ELi32EdPKdPdEvbiiT2_T3_lllS4_lllT4_llli, .Lfunc_end10-_ZL24rocblas_symm_hemm_kernelILb0ELb0ELi32EdPKdPdEvbiiT2_T3_lllS4_lllT4_llli
                                        ; -- End function
	.set _ZL24rocblas_symm_hemm_kernelILb0ELb0ELi32EdPKdPdEvbiiT2_T3_lllS4_lllT4_llli.num_vgpr, 48
	.set _ZL24rocblas_symm_hemm_kernelILb0ELb0ELi32EdPKdPdEvbiiT2_T3_lllS4_lllT4_llli.num_agpr, 0
	.set _ZL24rocblas_symm_hemm_kernelILb0ELb0ELi32EdPKdPdEvbiiT2_T3_lllS4_lllT4_llli.numbered_sgpr, 44
	.set _ZL24rocblas_symm_hemm_kernelILb0ELb0ELi32EdPKdPdEvbiiT2_T3_lllS4_lllT4_llli.num_named_barrier, 0
	.set _ZL24rocblas_symm_hemm_kernelILb0ELb0ELi32EdPKdPdEvbiiT2_T3_lllS4_lllT4_llli.private_seg_size, 0
	.set _ZL24rocblas_symm_hemm_kernelILb0ELb0ELi32EdPKdPdEvbiiT2_T3_lllS4_lllT4_llli.uses_vcc, 1
	.set _ZL24rocblas_symm_hemm_kernelILb0ELb0ELi32EdPKdPdEvbiiT2_T3_lllS4_lllT4_llli.uses_flat_scratch, 0
	.set _ZL24rocblas_symm_hemm_kernelILb0ELb0ELi32EdPKdPdEvbiiT2_T3_lllS4_lllT4_llli.has_dyn_sized_stack, 0
	.set _ZL24rocblas_symm_hemm_kernelILb0ELb0ELi32EdPKdPdEvbiiT2_T3_lllS4_lllT4_llli.has_recursion, 0
	.set _ZL24rocblas_symm_hemm_kernelILb0ELb0ELi32EdPKdPdEvbiiT2_T3_lllS4_lllT4_llli.has_indirect_call, 0
	.section	.AMDGPU.csdata,"",@progbits
; Kernel info:
; codeLenInByte = 1212
; TotalNumSgprs: 50
; NumVgprs: 48
; NumAgprs: 0
; TotalNumVgprs: 48
; ScratchSize: 0
; MemoryBound: 0
; FloatMode: 240
; IeeeMode: 1
; LDSByteSize: 16384 bytes/workgroup (compile time only)
; SGPRBlocks: 6
; VGPRBlocks: 5
; NumSGPRsForWavesPerEU: 50
; NumVGPRsForWavesPerEU: 48
; AccumOffset: 48
; Occupancy: 8
; WaveLimiterHint : 0
; COMPUTE_PGM_RSRC2:SCRATCH_EN: 0
; COMPUTE_PGM_RSRC2:USER_SGPR: 2
; COMPUTE_PGM_RSRC2:TRAP_HANDLER: 0
; COMPUTE_PGM_RSRC2:TGID_X_EN: 1
; COMPUTE_PGM_RSRC2:TGID_Y_EN: 1
; COMPUTE_PGM_RSRC2:TGID_Z_EN: 1
; COMPUTE_PGM_RSRC2:TIDIG_COMP_CNT: 1
; COMPUTE_PGM_RSRC3_GFX90A:ACCUM_OFFSET: 11
; COMPUTE_PGM_RSRC3_GFX90A:TG_SPLIT: 0
	.section	.text._ZL24rocblas_symm_hemm_kernelILb0ELb1ELi32EdPKdPdEvbiiT2_T3_lllS4_lllT4_llli,"axG",@progbits,_ZL24rocblas_symm_hemm_kernelILb0ELb1ELi32EdPKdPdEvbiiT2_T3_lllS4_lllT4_llli,comdat
	.globl	_ZL24rocblas_symm_hemm_kernelILb0ELb1ELi32EdPKdPdEvbiiT2_T3_lllS4_lllT4_llli ; -- Begin function _ZL24rocblas_symm_hemm_kernelILb0ELb1ELi32EdPKdPdEvbiiT2_T3_lllS4_lllT4_llli
	.p2align	8
	.type	_ZL24rocblas_symm_hemm_kernelILb0ELb1ELi32EdPKdPdEvbiiT2_T3_lllS4_lllT4_llli,@function
_ZL24rocblas_symm_hemm_kernelILb0ELb1ELi32EdPKdPdEvbiiT2_T3_lllS4_lllT4_llli: ; @_ZL24rocblas_symm_hemm_kernelILb0ELb1ELi32EdPKdPdEvbiiT2_T3_lllS4_lllT4_llli
; %bb.0:
	s_load_dwordx16 s[8:23], s[0:1], 0x10
	s_waitcnt lgkmcnt(0)
	v_cmp_eq_f64_e64 s[6:7], s[8:9], 0
	s_and_b64 vcc, exec, s[6:7]
	s_cbranch_vccnz .LBB11_13
; %bb.1:
	s_load_dwordx4 s[36:39], s[0:1], 0x0
	s_waitcnt lgkmcnt(0)
	s_add_i32 s5, s38, -1
	s_ashr_i32 s6, s5, 31
	s_lshr_b32 s6, s6, 27
	s_add_i32 s5, s5, s6
	s_ashr_i32 s33, s5, 5
	s_cmp_gt_i32 s3, s33
	s_cbranch_scc1 .LBB11_13
; %bb.2:
	s_mul_i32 s5, s17, s4
	s_mul_hi_u32 s6, s16, s4
	s_add_i32 s7, s6, s5
	s_mul_i32 s6, s16, s4
	s_lshl_b64 s[6:7], s[6:7], 3
	s_add_u32 s5, s10, s6
	s_addc_u32 s11, s11, s7
	s_lshl_b64 s[6:7], s[12:13], 3
	s_load_dwordx2 s[12:13], s[0:1], 0x70
	s_add_u32 s10, s5, s6
	s_addc_u32 s11, s11, s7
	s_load_dwordx8 s[24:31], s[0:1], 0x50
	s_load_dword s34, s[0:1], 0x84
	s_bitcmp1_b32 s36, 0
	s_waitcnt lgkmcnt(0)
	s_mul_i32 s0, s13, s4
	s_mul_hi_u32 s1, s12, s4
	s_cselect_b64 s[6:7], -1, 0
	s_add_i32 s1, s1, s0
	s_mul_i32 s0, s12, s4
	s_lshl_b64 s[0:1], s[0:1], 3
	s_add_u32 s5, s26, s0
	s_addc_u32 s13, s27, s1
	s_lshl_b64 s[0:1], s[28:29], 3
	s_add_u32 s12, s5, s0
	s_addc_u32 s13, s13, s1
	s_mul_i32 s0, s25, s4
	s_mul_hi_u32 s1, s24, s4
	s_add_i32 s1, s1, s0
	s_mul_i32 s0, s24, s4
	s_lshl_b64 s[0:1], s[0:1], 3
	s_add_u32 s4, s18, s0
	s_addc_u32 s5, s19, s1
	s_lshl_b64 s[0:1], s[20:21], 3
	v_and_b32_e32 v10, 0x3ff, v0
	s_add_u32 s4, s4, s0
	v_lshl_add_u32 v2, s2, 5, v10
	s_addc_u32 s5, s5, s1
	v_ashrrev_i32_e32 v3, 31, v2
	v_bfe_u32 v11, v0, 10, 10
	s_cmp_gt_i32 s38, 0
	v_cmp_gt_i32_e64 s[0:1], s37, v2
	v_lshlrev_b64 v[2:3], 3, v[2:3]
	v_lshl_add_u64 v[0:1], s[4:5], 0, v[2:3]
	v_lshlrev_b32_e32 v12, 8, v10
	v_lshlrev_b32_e32 v4, 3, v11
	s_cselect_b64 s[4:5], -1, 0
	v_add_u32_e32 v13, v12, v4
	v_or_b32_e32 v14, 0x2000, v4
	v_cndmask_b32_e64 v4, 0, 1, s[4:5]
	v_add_u32_e32 v15, v14, v12
	v_lshl_add_u64 v[2:3], s[12:13], 0, v[2:3]
	v_cmp_ne_u32_e64 s[4:5], 1, v4
	v_add_u32_e32 v16, 0x800, v14
	v_add_u32_e32 v17, 0x1000, v14
	;; [unrolled: 1-line block ×3, first 2 shown]
	s_branch .LBB11_4
.LBB11_3:                               ;   in Loop: Header=BB11_4 Depth=1
	s_add_i32 s3, s3, s34
	s_cmp_gt_i32 s3, s33
	s_cbranch_scc1 .LBB11_13
.LBB11_4:                               ; =>This Loop Header: Depth=1
                                        ;     Child Loop BB11_7 Depth 2
	s_and_b64 vcc, exec, s[4:5]
	s_cbranch_vccnz .LBB11_3
; %bb.5:                                ;   in Loop: Header=BB11_4 Depth=1
	v_lshl_add_u32 v19, s3, 5, v11
	v_ashrrev_i32_e32 v4, 31, v19
	v_mul_lo_u32 v6, s30, v4
	v_mul_lo_u32 v7, s31, v19
	v_mad_u64_u32 v[4:5], s[16:17], s30, v19, 0
	v_cmp_gt_i32_e32 vcc, s38, v19
	v_add3_u32 v5, v5, v6, v7
	s_and_b64 s[12:13], s[0:1], vcc
	v_lshl_add_u64 v[4:5], v[4:5], 3, v[2:3]
	s_mov_b32 s2, 0
	s_branch .LBB11_7
.LBB11_6:                               ;   in Loop: Header=BB11_7 Depth=2
	s_or_b64 exec, exec, s[16:17]
	s_add_i32 s2, s2, 32
	s_cmp_ge_i32 s2, s38
	s_barrier
	s_cbranch_scc1 .LBB11_3
.LBB11_7:                               ;   Parent Loop BB11_4 Depth=1
                                        ; =>  This Inner Loop Header: Depth=2
	v_add_u32_e32 v20, s2, v11
	v_cmp_gt_i32_e32 vcc, s38, v20
	s_and_b64 s[18:19], s[0:1], vcc
	v_mov_b64_e32 v[6:7], 0
	v_mov_b64_e32 v[8:9], 0
	s_and_saveexec_b64 s[16:17], s[18:19]
	s_cbranch_execz .LBB11_9
; %bb.8:                                ;   in Loop: Header=BB11_7 Depth=2
	v_ashrrev_i32_e32 v8, 31, v20
	v_mul_lo_u32 v21, s23, v20
	v_mul_lo_u32 v22, s22, v8
	v_mad_u64_u32 v[8:9], s[18:19], s22, v20, 0
	v_add3_u32 v9, v9, v22, v21
	v_lshl_add_u64 v[8:9], v[8:9], 3, v[0:1]
	global_load_dwordx2 v[8:9], v[8:9], off
.LBB11_9:                               ;   in Loop: Header=BB11_7 Depth=2
	s_or_b64 exec, exec, s[16:17]
	s_waitcnt vmcnt(0)
	ds_write_b64 v13, v[8:9]
	v_add_u32_e32 v9, s2, v10
	v_cndmask_b32_e64 v8, v19, v9, s[6:7]
	v_cndmask_b32_e64 v20, v9, v19, s[6:7]
	v_cmp_gt_i32_e32 vcc, v8, v20
	s_nop 1
	v_cndmask_b32_e32 v8, v9, v19, vcc
	v_cndmask_b32_e32 v9, v19, v9, vcc
	v_max_i32_e32 v20, v8, v9
	v_cmp_gt_i32_e32 vcc, s38, v20
	s_and_saveexec_b64 s[16:17], vcc
	s_cbranch_execz .LBB11_11
; %bb.10:                               ;   in Loop: Header=BB11_7 Depth=2
	v_ashrrev_i32_e32 v6, 31, v9
	v_mul_lo_u32 v20, s15, v9
	v_mul_lo_u32 v21, s14, v6
	v_mad_u64_u32 v[6:7], s[18:19], s14, v9, 0
	v_add3_u32 v7, v7, v21, v20
	v_ashrrev_i32_e32 v9, 31, v8
	v_lshl_add_u64 v[6:7], v[6:7], 3, s[10:11]
	v_lshl_add_u64 v[6:7], v[8:9], 3, v[6:7]
	global_load_dwordx2 v[6:7], v[6:7], off
.LBB11_11:                              ;   in Loop: Header=BB11_7 Depth=2
	s_or_b64 exec, exec, s[16:17]
	s_waitcnt vmcnt(0)
	ds_write_b64 v15, v[6:7]
	s_waitcnt lgkmcnt(0)
	s_barrier
	s_and_saveexec_b64 s[16:17], s[12:13]
	s_cbranch_execz .LBB11_6
; %bb.12:                               ;   in Loop: Header=BB11_7 Depth=2
	global_load_dwordx2 v[44:45], v[4:5], off
	ds_read2_b64 v[6:9], v14 offset1:32
	ds_read_b128 v[20:23], v12
	ds_read_b128 v[24:27], v12 offset:16
	ds_read2_b64 v[28:31], v14 offset0:64 offset1:96
	ds_read_b128 v[32:35], v12 offset:32
	ds_read_b128 v[36:39], v12 offset:48
	ds_read2_b64 v[40:43], v14 offset0:128 offset1:160
	s_waitcnt lgkmcnt(5)
	v_fma_f64 v[46:47], v[20:21], v[6:7], 0
	v_fmac_f64_e32 v[46:47], v[22:23], v[8:9]
	ds_read2_b64 v[6:9], v14 offset0:192 offset1:224
	s_waitcnt lgkmcnt(4)
	v_fmac_f64_e32 v[46:47], v[24:25], v[28:29]
	v_fmac_f64_e32 v[46:47], v[26:27], v[30:31]
	s_waitcnt lgkmcnt(1)
	v_fmac_f64_e32 v[46:47], v[32:33], v[40:41]
	v_fmac_f64_e32 v[46:47], v[34:35], v[42:43]
	ds_read_b128 v[20:23], v12 offset:64
	ds_read2_b64 v[24:27], v16 offset1:32
	s_waitcnt lgkmcnt(2)
	v_fmac_f64_e32 v[46:47], v[36:37], v[6:7]
	v_fmac_f64_e32 v[46:47], v[38:39], v[8:9]
	ds_read_b128 v[6:9], v12 offset:80
	ds_read2_b64 v[28:31], v16 offset0:64 offset1:96
	s_waitcnt lgkmcnt(2)
	v_fmac_f64_e32 v[46:47], v[20:21], v[24:25]
	v_fmac_f64_e32 v[46:47], v[22:23], v[26:27]
	ds_read_b128 v[20:23], v12 offset:96
	ds_read2_b64 v[24:27], v16 offset0:128 offset1:160
	;; [unrolled: 5-line block ×3, first 2 shown]
	s_waitcnt lgkmcnt(2)
	v_fmac_f64_e32 v[46:47], v[20:21], v[24:25]
	v_fmac_f64_e32 v[46:47], v[22:23], v[26:27]
	ds_read_b128 v[20:23], v12 offset:128
	ds_read2_b64 v[24:27], v17 offset1:32
	s_waitcnt lgkmcnt(2)
	v_fmac_f64_e32 v[46:47], v[6:7], v[28:29]
	v_fmac_f64_e32 v[46:47], v[8:9], v[30:31]
	ds_read_b128 v[6:9], v12 offset:144
	ds_read2_b64 v[28:31], v17 offset0:64 offset1:96
	s_waitcnt lgkmcnt(2)
	v_fmac_f64_e32 v[46:47], v[20:21], v[24:25]
	v_fmac_f64_e32 v[46:47], v[22:23], v[26:27]
	ds_read_b128 v[20:23], v12 offset:160
	ds_read2_b64 v[24:27], v17 offset0:128 offset1:160
	;; [unrolled: 5-line block ×3, first 2 shown]
	ds_read_b128 v[32:35], v12 offset:192
	ds_read2_b64 v[36:39], v18 offset1:32
	s_waitcnt lgkmcnt(4)
	v_fmac_f64_e32 v[46:47], v[20:21], v[24:25]
	v_fmac_f64_e32 v[46:47], v[22:23], v[26:27]
	s_waitcnt lgkmcnt(2)
	v_fmac_f64_e32 v[46:47], v[6:7], v[28:29]
	v_fmac_f64_e32 v[46:47], v[8:9], v[30:31]
	ds_read_b128 v[6:9], v12 offset:208
	s_waitcnt lgkmcnt(1)
	v_fmac_f64_e32 v[46:47], v[32:33], v[36:37]
	v_fmac_f64_e32 v[46:47], v[34:35], v[38:39]
	ds_read2_b64 v[20:23], v18 offset0:64 offset1:96
	ds_read2_b64 v[24:27], v18 offset0:128 offset1:160
	ds_read_b128 v[28:31], v12 offset:224
	ds_read_b128 v[32:35], v12 offset:240
	ds_read2_b64 v[36:39], v18 offset0:192 offset1:224
	s_waitcnt lgkmcnt(4)
	v_fmac_f64_e32 v[46:47], v[6:7], v[20:21]
	v_fmac_f64_e32 v[46:47], v[8:9], v[22:23]
	s_waitcnt lgkmcnt(2)
	v_fmac_f64_e32 v[46:47], v[28:29], v[24:25]
	v_fmac_f64_e32 v[46:47], v[30:31], v[26:27]
	;; [unrolled: 3-line block ×3, first 2 shown]
	s_waitcnt vmcnt(0)
	v_fmac_f64_e32 v[44:45], s[8:9], v[46:47]
	global_store_dwordx2 v[4:5], v[44:45], off
	s_branch .LBB11_6
.LBB11_13:
	s_endpgm
	.section	.rodata,"a",@progbits
	.p2align	6, 0x0
	.amdhsa_kernel _ZL24rocblas_symm_hemm_kernelILb0ELb1ELi32EdPKdPdEvbiiT2_T3_lllS4_lllT4_llli
		.amdhsa_group_segment_fixed_size 16384
		.amdhsa_private_segment_fixed_size 0
		.amdhsa_kernarg_size 384
		.amdhsa_user_sgpr_count 2
		.amdhsa_user_sgpr_dispatch_ptr 0
		.amdhsa_user_sgpr_queue_ptr 0
		.amdhsa_user_sgpr_kernarg_segment_ptr 1
		.amdhsa_user_sgpr_dispatch_id 0
		.amdhsa_user_sgpr_kernarg_preload_length 0
		.amdhsa_user_sgpr_kernarg_preload_offset 0
		.amdhsa_user_sgpr_private_segment_size 0
		.amdhsa_uses_dynamic_stack 0
		.amdhsa_enable_private_segment 0
		.amdhsa_system_sgpr_workgroup_id_x 1
		.amdhsa_system_sgpr_workgroup_id_y 1
		.amdhsa_system_sgpr_workgroup_id_z 1
		.amdhsa_system_sgpr_workgroup_info 0
		.amdhsa_system_vgpr_workitem_id 1
		.amdhsa_next_free_vgpr 48
		.amdhsa_next_free_sgpr 40
		.amdhsa_accum_offset 48
		.amdhsa_reserve_vcc 1
		.amdhsa_float_round_mode_32 0
		.amdhsa_float_round_mode_16_64 0
		.amdhsa_float_denorm_mode_32 3
		.amdhsa_float_denorm_mode_16_64 3
		.amdhsa_dx10_clamp 1
		.amdhsa_ieee_mode 1
		.amdhsa_fp16_overflow 0
		.amdhsa_tg_split 0
		.amdhsa_exception_fp_ieee_invalid_op 0
		.amdhsa_exception_fp_denorm_src 0
		.amdhsa_exception_fp_ieee_div_zero 0
		.amdhsa_exception_fp_ieee_overflow 0
		.amdhsa_exception_fp_ieee_underflow 0
		.amdhsa_exception_fp_ieee_inexact 0
		.amdhsa_exception_int_div_zero 0
	.end_amdhsa_kernel
	.section	.text._ZL24rocblas_symm_hemm_kernelILb0ELb1ELi32EdPKdPdEvbiiT2_T3_lllS4_lllT4_llli,"axG",@progbits,_ZL24rocblas_symm_hemm_kernelILb0ELb1ELi32EdPKdPdEvbiiT2_T3_lllS4_lllT4_llli,comdat
.Lfunc_end11:
	.size	_ZL24rocblas_symm_hemm_kernelILb0ELb1ELi32EdPKdPdEvbiiT2_T3_lllS4_lllT4_llli, .Lfunc_end11-_ZL24rocblas_symm_hemm_kernelILb0ELb1ELi32EdPKdPdEvbiiT2_T3_lllS4_lllT4_llli
                                        ; -- End function
	.set _ZL24rocblas_symm_hemm_kernelILb0ELb1ELi32EdPKdPdEvbiiT2_T3_lllS4_lllT4_llli.num_vgpr, 48
	.set _ZL24rocblas_symm_hemm_kernelILb0ELb1ELi32EdPKdPdEvbiiT2_T3_lllS4_lllT4_llli.num_agpr, 0
	.set _ZL24rocblas_symm_hemm_kernelILb0ELb1ELi32EdPKdPdEvbiiT2_T3_lllS4_lllT4_llli.numbered_sgpr, 40
	.set _ZL24rocblas_symm_hemm_kernelILb0ELb1ELi32EdPKdPdEvbiiT2_T3_lllS4_lllT4_llli.num_named_barrier, 0
	.set _ZL24rocblas_symm_hemm_kernelILb0ELb1ELi32EdPKdPdEvbiiT2_T3_lllS4_lllT4_llli.private_seg_size, 0
	.set _ZL24rocblas_symm_hemm_kernelILb0ELb1ELi32EdPKdPdEvbiiT2_T3_lllS4_lllT4_llli.uses_vcc, 1
	.set _ZL24rocblas_symm_hemm_kernelILb0ELb1ELi32EdPKdPdEvbiiT2_T3_lllS4_lllT4_llli.uses_flat_scratch, 0
	.set _ZL24rocblas_symm_hemm_kernelILb0ELb1ELi32EdPKdPdEvbiiT2_T3_lllS4_lllT4_llli.has_dyn_sized_stack, 0
	.set _ZL24rocblas_symm_hemm_kernelILb0ELb1ELi32EdPKdPdEvbiiT2_T3_lllS4_lllT4_llli.has_recursion, 0
	.set _ZL24rocblas_symm_hemm_kernelILb0ELb1ELi32EdPKdPdEvbiiT2_T3_lllS4_lllT4_llli.has_indirect_call, 0
	.section	.AMDGPU.csdata,"",@progbits
; Kernel info:
; codeLenInByte = 1196
; TotalNumSgprs: 46
; NumVgprs: 48
; NumAgprs: 0
; TotalNumVgprs: 48
; ScratchSize: 0
; MemoryBound: 0
; FloatMode: 240
; IeeeMode: 1
; LDSByteSize: 16384 bytes/workgroup (compile time only)
; SGPRBlocks: 5
; VGPRBlocks: 5
; NumSGPRsForWavesPerEU: 46
; NumVGPRsForWavesPerEU: 48
; AccumOffset: 48
; Occupancy: 8
; WaveLimiterHint : 0
; COMPUTE_PGM_RSRC2:SCRATCH_EN: 0
; COMPUTE_PGM_RSRC2:USER_SGPR: 2
; COMPUTE_PGM_RSRC2:TRAP_HANDLER: 0
; COMPUTE_PGM_RSRC2:TGID_X_EN: 1
; COMPUTE_PGM_RSRC2:TGID_Y_EN: 1
; COMPUTE_PGM_RSRC2:TGID_Z_EN: 1
; COMPUTE_PGM_RSRC2:TIDIG_COMP_CNT: 1
; COMPUTE_PGM_RSRC3_GFX90A:ACCUM_OFFSET: 11
; COMPUTE_PGM_RSRC3_GFX90A:TG_SPLIT: 0
	.section	.text._ZL25rocblas_symm_scale_kernelILi128ELi8EPK19rocblas_complex_numIfEPS1_EviiT1_T2_llli,"axG",@progbits,_ZL25rocblas_symm_scale_kernelILi128ELi8EPK19rocblas_complex_numIfEPS1_EviiT1_T2_llli,comdat
	.globl	_ZL25rocblas_symm_scale_kernelILi128ELi8EPK19rocblas_complex_numIfEPS1_EviiT1_T2_llli ; -- Begin function _ZL25rocblas_symm_scale_kernelILi128ELi8EPK19rocblas_complex_numIfEPS1_EviiT1_T2_llli
	.p2align	8
	.type	_ZL25rocblas_symm_scale_kernelILi128ELi8EPK19rocblas_complex_numIfEPS1_EviiT1_T2_llli,@function
_ZL25rocblas_symm_scale_kernelILi128ELi8EPK19rocblas_complex_numIfEPS1_EviiT1_T2_llli: ; @_ZL25rocblas_symm_scale_kernelILi128ELi8EPK19rocblas_complex_numIfEPS1_EviiT1_T2_llli
; %bb.0:
	s_load_dwordx8 s[8:15], s[0:1], 0x8
	s_waitcnt lgkmcnt(0)
	s_load_dwordx2 s[6:7], s[8:9], 0x0
	s_waitcnt lgkmcnt(0)
	v_cmp_eq_f32_e64 s[8:9], s7, 0
	v_cmp_eq_f32_e64 s[16:17], s6, 1.0
	s_and_b64 s[8:9], s[16:17], s[8:9]
	s_and_b64 vcc, exec, s[8:9]
	s_cbranch_vccnz .LBB12_6
; %bb.1:
	s_load_dwordx2 s[16:17], s[0:1], 0x0
	v_and_b32_e32 v1, 0x3ff, v0
	v_bfe_u32 v0, v0, 10, 10
	v_lshl_add_u32 v2, s2, 7, v1
	v_lshl_add_u32 v0, s3, 3, v0
	v_mov_b32_e32 v1, 0
	s_waitcnt lgkmcnt(0)
	s_ashr_i32 s9, s17, 31
	s_mov_b32 s8, s17
	v_cmp_gt_u32_e32 vcc, s16, v2
	v_cmp_gt_i64_e64 s[2:3], s[8:9], v[0:1]
	s_and_b64 s[2:3], vcc, s[2:3]
	s_and_saveexec_b64 s[16:17], s[2:3]
	s_cbranch_execz .LBB12_6
; %bb.2:
	s_load_dwordx2 s[18:19], s[0:1], 0x28
	s_load_dword s5, s[0:1], 0x3c
	s_or_b32 s2, s6, s7
	s_bitset0_b32 s2, 31
	s_cmp_lg_u32 s2, 0
	s_cselect_b64 s[0:1], -1, 0
	s_waitcnt lgkmcnt(0)
	s_lshl_b32 s2, s5, 3
	s_mul_i32 s5, s19, s4
	s_mul_hi_u32 s19, s18, s4
	s_add_i32 s5, s19, s5
	s_mul_i32 s4, s18, s4
	v_mad_u64_u32 v[4:5], s[18:19], s14, v0, 0
	s_lshl_b64 s[4:5], s[4:5], 3
	v_mov_b32_e32 v6, v5
	s_lshl_b64 s[12:13], s[12:13], 3
	v_mad_u64_u32 v[6:7], s[18:19], s15, v0, v[6:7]
	s_add_u32 s4, s12, s4
	v_mov_b32_e32 v5, v6
	s_addc_u32 s5, s13, s5
	v_mov_b32_e32 v3, v1
	v_lshl_add_u64 v[4:5], v[4:5], 3, s[4:5]
	s_mul_i32 s4, s15, s2
	s_mul_hi_u32 s5, s14, s2
	v_lshl_add_u64 v[2:3], v[2:3], 3, v[4:5]
	s_add_i32 s5, s5, s4
	s_mul_i32 s4, s14, s2
	v_cndmask_b32_e64 v4, 0, 1, s[0:1]
	s_mov_b32 s3, 0
	s_mov_b32 s16, s6
	;; [unrolled: 1-line block ×4, first 2 shown]
	v_lshl_add_u64 v[2:3], s[10:11], 0, v[2:3]
	s_lshl_b64 s[4:5], s[4:5], 3
	s_mov_b64 s[10:11], 0
	v_cmp_ne_u32_e64 s[0:1], 1, v4
	s_branch .LBB12_4
.LBB12_3:                               ;   in Loop: Header=BB12_4 Depth=1
	v_lshl_add_u64 v[0:1], v[0:1], 0, s[2:3]
	v_cmp_le_i64_e32 vcc, s[8:9], v[0:1]
	global_store_dwordx2 v[2:3], v[4:5], off
	s_or_b64 s[10:11], vcc, s[10:11]
	v_lshl_add_u64 v[2:3], v[2:3], 0, s[4:5]
	s_andn2_b64 exec, exec, s[10:11]
	s_cbranch_execz .LBB12_6
.LBB12_4:                               ; =>This Inner Loop Header: Depth=1
	v_mov_b32_e32 v4, 0
	s_and_b64 vcc, exec, s[0:1]
	v_mov_b32_e32 v5, 0
	s_cbranch_vccnz .LBB12_3
; %bb.5:                                ;   in Loop: Header=BB12_4 Depth=1
	global_load_dwordx2 v[6:7], v[2:3], off
	s_waitcnt vmcnt(0)
	v_pk_mul_f32 v[8:9], v[6:7], s[6:7] op_sel:[1,0] op_sel_hi:[0,1]
	v_pk_fma_f32 v[4:5], v[6:7], s[16:17], v[8:9] neg_lo:[0,0,1] neg_hi:[0,0,1]
	v_pk_fma_f32 v[6:7], v[6:7], s[16:17], v[8:9]
	s_nop 0
	v_mov_b32_e32 v5, v7
	s_branch .LBB12_3
.LBB12_6:
	s_endpgm
	.section	.rodata,"a",@progbits
	.p2align	6, 0x0
	.amdhsa_kernel _ZL25rocblas_symm_scale_kernelILi128ELi8EPK19rocblas_complex_numIfEPS1_EviiT1_T2_llli
		.amdhsa_group_segment_fixed_size 0
		.amdhsa_private_segment_fixed_size 0
		.amdhsa_kernarg_size 312
		.amdhsa_user_sgpr_count 2
		.amdhsa_user_sgpr_dispatch_ptr 0
		.amdhsa_user_sgpr_queue_ptr 0
		.amdhsa_user_sgpr_kernarg_segment_ptr 1
		.amdhsa_user_sgpr_dispatch_id 0
		.amdhsa_user_sgpr_kernarg_preload_length 0
		.amdhsa_user_sgpr_kernarg_preload_offset 0
		.amdhsa_user_sgpr_private_segment_size 0
		.amdhsa_uses_dynamic_stack 0
		.amdhsa_enable_private_segment 0
		.amdhsa_system_sgpr_workgroup_id_x 1
		.amdhsa_system_sgpr_workgroup_id_y 1
		.amdhsa_system_sgpr_workgroup_id_z 1
		.amdhsa_system_sgpr_workgroup_info 0
		.amdhsa_system_vgpr_workitem_id 1
		.amdhsa_next_free_vgpr 10
		.amdhsa_next_free_sgpr 20
		.amdhsa_accum_offset 12
		.amdhsa_reserve_vcc 1
		.amdhsa_float_round_mode_32 0
		.amdhsa_float_round_mode_16_64 0
		.amdhsa_float_denorm_mode_32 3
		.amdhsa_float_denorm_mode_16_64 3
		.amdhsa_dx10_clamp 1
		.amdhsa_ieee_mode 1
		.amdhsa_fp16_overflow 0
		.amdhsa_tg_split 0
		.amdhsa_exception_fp_ieee_invalid_op 0
		.amdhsa_exception_fp_denorm_src 0
		.amdhsa_exception_fp_ieee_div_zero 0
		.amdhsa_exception_fp_ieee_overflow 0
		.amdhsa_exception_fp_ieee_underflow 0
		.amdhsa_exception_fp_ieee_inexact 0
		.amdhsa_exception_int_div_zero 0
	.end_amdhsa_kernel
	.section	.text._ZL25rocblas_symm_scale_kernelILi128ELi8EPK19rocblas_complex_numIfEPS1_EviiT1_T2_llli,"axG",@progbits,_ZL25rocblas_symm_scale_kernelILi128ELi8EPK19rocblas_complex_numIfEPS1_EviiT1_T2_llli,comdat
.Lfunc_end12:
	.size	_ZL25rocblas_symm_scale_kernelILi128ELi8EPK19rocblas_complex_numIfEPS1_EviiT1_T2_llli, .Lfunc_end12-_ZL25rocblas_symm_scale_kernelILi128ELi8EPK19rocblas_complex_numIfEPS1_EviiT1_T2_llli
                                        ; -- End function
	.set _ZL25rocblas_symm_scale_kernelILi128ELi8EPK19rocblas_complex_numIfEPS1_EviiT1_T2_llli.num_vgpr, 10
	.set _ZL25rocblas_symm_scale_kernelILi128ELi8EPK19rocblas_complex_numIfEPS1_EviiT1_T2_llli.num_agpr, 0
	.set _ZL25rocblas_symm_scale_kernelILi128ELi8EPK19rocblas_complex_numIfEPS1_EviiT1_T2_llli.numbered_sgpr, 20
	.set _ZL25rocblas_symm_scale_kernelILi128ELi8EPK19rocblas_complex_numIfEPS1_EviiT1_T2_llli.num_named_barrier, 0
	.set _ZL25rocblas_symm_scale_kernelILi128ELi8EPK19rocblas_complex_numIfEPS1_EviiT1_T2_llli.private_seg_size, 0
	.set _ZL25rocblas_symm_scale_kernelILi128ELi8EPK19rocblas_complex_numIfEPS1_EviiT1_T2_llli.uses_vcc, 1
	.set _ZL25rocblas_symm_scale_kernelILi128ELi8EPK19rocblas_complex_numIfEPS1_EviiT1_T2_llli.uses_flat_scratch, 0
	.set _ZL25rocblas_symm_scale_kernelILi128ELi8EPK19rocblas_complex_numIfEPS1_EviiT1_T2_llli.has_dyn_sized_stack, 0
	.set _ZL25rocblas_symm_scale_kernelILi128ELi8EPK19rocblas_complex_numIfEPS1_EviiT1_T2_llli.has_recursion, 0
	.set _ZL25rocblas_symm_scale_kernelILi128ELi8EPK19rocblas_complex_numIfEPS1_EviiT1_T2_llli.has_indirect_call, 0
	.section	.AMDGPU.csdata,"",@progbits
; Kernel info:
; codeLenInByte = 424
; TotalNumSgprs: 26
; NumVgprs: 10
; NumAgprs: 0
; TotalNumVgprs: 10
; ScratchSize: 0
; MemoryBound: 0
; FloatMode: 240
; IeeeMode: 1
; LDSByteSize: 0 bytes/workgroup (compile time only)
; SGPRBlocks: 3
; VGPRBlocks: 1
; NumSGPRsForWavesPerEU: 26
; NumVGPRsForWavesPerEU: 10
; AccumOffset: 12
; Occupancy: 8
; WaveLimiterHint : 0
; COMPUTE_PGM_RSRC2:SCRATCH_EN: 0
; COMPUTE_PGM_RSRC2:USER_SGPR: 2
; COMPUTE_PGM_RSRC2:TRAP_HANDLER: 0
; COMPUTE_PGM_RSRC2:TGID_X_EN: 1
; COMPUTE_PGM_RSRC2:TGID_Y_EN: 1
; COMPUTE_PGM_RSRC2:TGID_Z_EN: 1
; COMPUTE_PGM_RSRC2:TIDIG_COMP_CNT: 1
; COMPUTE_PGM_RSRC3_GFX90A:ACCUM_OFFSET: 2
; COMPUTE_PGM_RSRC3_GFX90A:TG_SPLIT: 0
	.section	.text._ZL24rocblas_symm_hemm_kernelILb0ELb0ELi32EPK19rocblas_complex_numIfES3_PS1_EvbiiT2_T3_lllS6_lllT4_llli,"axG",@progbits,_ZL24rocblas_symm_hemm_kernelILb0ELb0ELi32EPK19rocblas_complex_numIfES3_PS1_EvbiiT2_T3_lllS6_lllT4_llli,comdat
	.globl	_ZL24rocblas_symm_hemm_kernelILb0ELb0ELi32EPK19rocblas_complex_numIfES3_PS1_EvbiiT2_T3_lllS6_lllT4_llli ; -- Begin function _ZL24rocblas_symm_hemm_kernelILb0ELb0ELi32EPK19rocblas_complex_numIfES3_PS1_EvbiiT2_T3_lllS6_lllT4_llli
	.p2align	8
	.type	_ZL24rocblas_symm_hemm_kernelILb0ELb0ELi32EPK19rocblas_complex_numIfES3_PS1_EvbiiT2_T3_lllS6_lllT4_llli,@function
_ZL24rocblas_symm_hemm_kernelILb0ELb0ELi32EPK19rocblas_complex_numIfES3_PS1_EvbiiT2_T3_lllS6_lllT4_llli: ; @_ZL24rocblas_symm_hemm_kernelILb0ELb0ELi32EPK19rocblas_complex_numIfES3_PS1_EvbiiT2_T3_lllS6_lllT4_llli
; %bb.0:
	s_load_dwordx16 s[8:23], s[0:1], 0x10
	s_waitcnt lgkmcnt(0)
	s_load_dwordx2 s[34:35], s[8:9], 0x0
	s_waitcnt lgkmcnt(0)
	v_cmp_eq_f32_e64 s[6:7], s34, 0
	v_cmp_eq_f32_e64 s[8:9], s35, 0
	s_and_b64 s[6:7], s[6:7], s[8:9]
	s_and_b64 vcc, exec, s[6:7]
	s_cbranch_vccnz .LBB13_13
; %bb.1:
	s_load_dwordx4 s[36:39], s[0:1], 0x0
	s_waitcnt lgkmcnt(0)
	s_add_i32 s5, s38, -1
	s_ashr_i32 s6, s5, 31
	s_lshr_b32 s6, s6, 27
	s_add_i32 s5, s5, s6
	s_ashr_i32 s33, s5, 5
	s_cmp_gt_i32 s3, s33
	s_cbranch_scc1 .LBB13_13
; %bb.2:
	s_mul_i32 s5, s17, s4
	s_mul_hi_u32 s6, s16, s4
	s_load_dwordx8 s[24:31], s[0:1], 0x50
	s_load_dwordx2 s[8:9], s[0:1], 0x70
	s_add_i32 s7, s6, s5
	s_mul_i32 s6, s16, s4
	s_lshl_b64 s[6:7], s[6:7], 3
	s_add_u32 s5, s10, s6
	s_addc_u32 s11, s11, s7
	s_lshl_b64 s[6:7], s[12:13], 3
	s_add_u32 s10, s5, s6
	s_waitcnt lgkmcnt(0)
	s_mul_i32 s5, s25, s4
	s_mul_hi_u32 s6, s24, s4
	s_addc_u32 s11, s11, s7
	s_add_i32 s7, s6, s5
	s_mul_i32 s6, s24, s4
	s_lshl_b64 s[6:7], s[6:7], 3
	s_add_u32 s5, s18, s6
	s_addc_u32 s13, s19, s7
	s_lshl_b64 s[6:7], s[20:21], 3
	s_add_u32 s12, s5, s6
	s_addc_u32 s13, s13, s7
	s_bitcmp1_b32 s36, 0
	s_load_dword s24, s[0:1], 0x84
	s_mul_i32 s0, s9, s4
	s_mul_hi_u32 s1, s8, s4
	s_cselect_b64 s[6:7], -1, 0
	s_add_i32 s1, s1, s0
	s_mul_i32 s0, s8, s4
	s_lshl_b64 s[0:1], s[0:1], 3
	s_add_u32 s4, s26, s0
	s_addc_u32 s5, s27, s1
	s_lshl_b64 s[0:1], s[28:29], 3
	s_add_u32 s4, s4, s0
	v_and_b32_e32 v16, 0x3ff, v0
	s_addc_u32 s5, s5, s1
	v_lshl_add_u32 v8, s2, 5, v16
	v_bfe_u32 v17, v0, 10, 10
	s_cmp_gt_i32 s37, 0
	v_ashrrev_i32_e32 v9, 31, v8
	v_lshlrev_b32_e32 v18, 8, v16
	v_lshlrev_b32_e32 v0, 3, v17
	v_lshl_add_u64 v[10:11], v[8:9], 3, s[4:5]
	s_cselect_b64 s[4:5], -1, 0
	v_add_u32_e32 v19, v18, v0
	v_or_b32_e32 v20, 0x2000, v0
	v_cndmask_b32_e64 v0, 0, 1, s[4:5]
	v_add_u32_e32 v21, v20, v18
	v_cmp_gt_i32_e64 s[0:1], s37, v8
	s_mov_b32 s16, s35
	s_mov_b32 s17, s34
	v_cmp_ne_u32_e64 s[4:5], 1, v0
	v_add_u32_e32 v9, 0x800, v20
	v_add_u32_e32 v22, 0x1000, v20
	;; [unrolled: 1-line block ×3, first 2 shown]
	s_branch .LBB13_4
.LBB13_3:                               ;   in Loop: Header=BB13_4 Depth=1
	s_waitcnt lgkmcnt(0)
	s_add_i32 s3, s3, s24
	s_cmp_gt_i32 s3, s33
	s_cbranch_scc1 .LBB13_13
.LBB13_4:                               ; =>This Loop Header: Depth=1
                                        ;     Child Loop BB13_7 Depth 2
	s_and_b64 vcc, exec, s[4:5]
	s_cbranch_vccnz .LBB13_3
; %bb.5:                                ;   in Loop: Header=BB13_4 Depth=1
	v_lshl_add_u32 v2, s3, 5, v17
	v_ashrrev_i32_e32 v3, 31, v2
	v_mul_lo_u32 v4, s22, v3
	v_mul_lo_u32 v5, s23, v2
	v_mad_u64_u32 v[0:1], s[8:9], s22, v2, 0
	v_add3_u32 v1, v1, v4, v5
	v_lshl_add_u64 v[12:13], v[0:1], 3, s[12:13]
	v_mul_lo_u32 v3, s30, v3
	v_mul_lo_u32 v4, s31, v2
	v_mad_u64_u32 v[0:1], s[8:9], s30, v2, 0
	v_cmp_gt_i32_e32 vcc, s38, v2
	v_add3_u32 v1, v1, v3, v4
	s_and_b64 s[18:19], s[0:1], vcc
	v_lshl_add_u64 v[14:15], v[0:1], 3, v[10:11]
	s_mov_b32 s2, 0
	s_branch .LBB13_7
.LBB13_6:                               ;   in Loop: Header=BB13_7 Depth=2
	s_or_b64 exec, exec, s[8:9]
	s_add_i32 s2, s2, 32
	s_cmp_ge_i32 s2, s37
	s_barrier
	s_cbranch_scc1 .LBB13_3
.LBB13_7:                               ;   Parent Loop BB13_4 Depth=1
                                        ; =>  This Inner Loop Header: Depth=2
	v_add_u32_e32 v0, s2, v17
	v_cndmask_b32_e64 v1, v0, v8, s[6:7]
	v_cndmask_b32_e64 v2, v8, v0, s[6:7]
	v_cmp_gt_i32_e64 s[8:9], v1, v2
	v_mov_b32_e32 v4, 0
	v_mov_b32_e32 v5, 0
	v_cndmask_b32_e64 v2, v8, v0, s[8:9]
	v_cndmask_b32_e64 v1, v0, v8, s[8:9]
	v_max_i32_e32 v0, v2, v1
	v_cmp_gt_i32_e64 s[8:9], s37, v0
	v_mov_b32_e32 v0, 0
	s_and_saveexec_b64 s[20:21], s[8:9]
	s_cbranch_execz .LBB13_9
; %bb.8:                                ;   in Loop: Header=BB13_7 Depth=2
	v_ashrrev_i32_e32 v3, 31, v1
	v_mul_lo_u32 v6, s15, v1
	v_mul_lo_u32 v3, s14, v3
	v_mad_u64_u32 v[4:5], s[8:9], s14, v1, 0
	v_add3_u32 v5, v5, v3, v6
	v_ashrrev_i32_e32 v3, 31, v2
	v_lshl_add_u64 v[4:5], v[4:5], 3, s[10:11]
	v_lshl_add_u64 v[2:3], v[2:3], 3, v[4:5]
	global_load_dwordx2 v[4:5], v[2:3], off
.LBB13_9:                               ;   in Loop: Header=BB13_7 Depth=2
	s_or_b64 exec, exec, s[20:21]
	v_add_u32_e32 v2, s2, v16
	v_cmp_gt_i32_e64 s[8:9], s37, v2
	s_and_b64 s[20:21], s[8:9], vcc
	v_mov_b32_e32 v1, 0
	s_waitcnt vmcnt(0)
	ds_write_b64 v19, v[4:5]
	s_and_saveexec_b64 s[8:9], s[20:21]
	s_cbranch_execz .LBB13_11
; %bb.10:                               ;   in Loop: Header=BB13_7 Depth=2
	v_ashrrev_i32_e32 v3, 31, v2
	v_lshl_add_u64 v[0:1], v[2:3], 3, v[12:13]
	global_load_dwordx2 v[0:1], v[0:1], off
.LBB13_11:                              ;   in Loop: Header=BB13_7 Depth=2
	s_or_b64 exec, exec, s[8:9]
	s_waitcnt vmcnt(0)
	ds_write_b64 v21, v[0:1]
	s_waitcnt lgkmcnt(0)
	s_barrier
	s_and_saveexec_b64 s[8:9], s[18:19]
	s_cbranch_execz .LBB13_6
; %bb.12:                               ;   in Loop: Header=BB13_7 Depth=2
	ds_read2_b64 v[0:3], v20 offset1:32
	ds_read_b128 v[4:7], v18
	ds_read_b128 v[24:27], v18 offset:16
	ds_read_b128 v[28:31], v18 offset:32
	;; [unrolled: 1-line block ×3, first 2 shown]
	s_waitcnt lgkmcnt(3)
	v_mul_f32_e32 v36, v1, v5
	v_fma_f32 v36, v0, v4, -v36
	v_mul_f32_e32 v0, v0, v5
	v_fmac_f32_e32 v0, v1, v4
	v_add_f32_e32 v1, 0, v36
	ds_read2_b64 v[36:39], v20 offset0:64 offset1:96
	v_mul_f32_e32 v4, v3, v7
	v_fma_f32 v4, v2, v6, -v4
	v_mul_f32_e32 v2, v2, v7
	v_add_f32_e32 v0, 0, v0
	v_fmac_f32_e32 v2, v3, v6
	s_waitcnt lgkmcnt(0)
	v_mul_f32_e32 v3, v36, v25
	v_add_f32_e32 v0, v0, v2
	v_mul_f32_e32 v2, v37, v25
	v_fmac_f32_e32 v3, v37, v24
	v_add_f32_e32 v1, v1, v4
	v_fma_f32 v2, v36, v24, -v2
	v_add_f32_e32 v5, v0, v3
	v_mul_f32_e32 v0, v39, v27
	v_add_f32_e32 v4, v1, v2
	v_fma_f32 v6, v38, v26, -v0
	ds_read2_b64 v[0:3], v20 offset0:128 offset1:160
	v_mul_f32_e32 v7, v38, v27
	v_add_f32_e32 v4, v4, v6
	v_fmac_f32_e32 v7, v39, v26
	v_add_f32_e32 v5, v5, v7
	s_waitcnt lgkmcnt(0)
	v_mul_f32_e32 v6, v1, v29
	v_fma_f32 v6, v0, v28, -v6
	v_mul_f32_e32 v0, v0, v29
	v_fmac_f32_e32 v0, v1, v28
	v_add_f32_e32 v1, v4, v6
	v_mul_f32_e32 v4, v3, v31
	v_add_f32_e32 v0, v5, v0
	v_fma_f32 v24, v2, v30, -v4
	ds_read2_b64 v[4:7], v20 offset0:192 offset1:224
	v_mul_f32_e32 v2, v2, v31
	v_fmac_f32_e32 v2, v3, v30
	v_add_f32_e32 v0, v0, v2
	v_add_f32_e32 v1, v1, v24
	s_waitcnt lgkmcnt(0)
	v_mul_f32_e32 v3, v4, v33
	v_mul_f32_e32 v2, v5, v33
	v_fmac_f32_e32 v3, v5, v32
	v_fma_f32 v2, v4, v32, -v2
	v_add_f32_e32 v5, v0, v3
	v_mul_f32_e32 v0, v7, v35
	v_add_f32_e32 v4, v1, v2
	v_fma_f32 v28, v6, v34, -v0
	ds_read_b128 v[0:3], v18 offset:64
	ds_read2_b64 v[24:27], v9 offset1:32
	v_mul_f32_e32 v6, v6, v35
	v_fmac_f32_e32 v6, v7, v34
	v_add_f32_e32 v28, v4, v28
	v_add_f32_e32 v29, v5, v6
	s_waitcnt lgkmcnt(0)
	v_mul_f32_e32 v30, v25, v1
	v_mul_f32_e32 v1, v24, v1
	v_fma_f32 v30, v24, v0, -v30
	v_fmac_f32_e32 v1, v25, v0
	ds_read_b128 v[4:7], v18 offset:80
	v_add_f32_e32 v0, v28, v30
	v_add_f32_e32 v1, v29, v1
	ds_read2_b64 v[28:31], v9 offset0:64 offset1:96
	v_mul_f32_e32 v24, v27, v3
	v_mul_f32_e32 v3, v26, v3
	v_fma_f32 v24, v26, v2, -v24
	v_fmac_f32_e32 v3, v27, v2
	s_waitcnt lgkmcnt(0)
	v_mul_f32_e32 v2, v29, v5
	v_add_f32_e32 v0, v0, v24
	v_add_f32_e32 v1, v1, v3
	v_fma_f32 v2, v28, v4, -v2
	v_mul_f32_e32 v3, v28, v5
	v_fmac_f32_e32 v3, v29, v4
	v_add_f32_e32 v4, v0, v2
	v_mul_f32_e32 v0, v31, v7
	v_add_f32_e32 v5, v1, v3
	v_fma_f32 v28, v30, v6, -v0
	ds_read_b128 v[0:3], v18 offset:96
	ds_read2_b64 v[24:27], v9 offset0:128 offset1:160
	v_mul_f32_e32 v7, v30, v7
	v_fmac_f32_e32 v7, v31, v6
	v_add_f32_e32 v28, v4, v28
	v_add_f32_e32 v29, v5, v7
	s_waitcnt lgkmcnt(0)
	v_mul_f32_e32 v30, v25, v1
	v_mul_f32_e32 v1, v24, v1
	v_fma_f32 v30, v24, v0, -v30
	v_fmac_f32_e32 v1, v25, v0
	ds_read_b128 v[4:7], v18 offset:112
	v_add_f32_e32 v0, v28, v30
	v_add_f32_e32 v1, v29, v1
	ds_read2_b64 v[28:31], v9 offset0:192 offset1:224
	v_mul_f32_e32 v24, v27, v3
	v_mul_f32_e32 v3, v26, v3
	v_fma_f32 v24, v26, v2, -v24
	v_fmac_f32_e32 v3, v27, v2
	s_waitcnt lgkmcnt(0)
	v_mul_f32_e32 v2, v29, v5
	v_add_f32_e32 v0, v0, v24
	v_add_f32_e32 v1, v1, v3
	v_fma_f32 v2, v28, v4, -v2
	v_mul_f32_e32 v3, v28, v5
	v_fmac_f32_e32 v3, v29, v4
	v_add_f32_e32 v4, v0, v2
	v_mul_f32_e32 v0, v31, v7
	v_add_f32_e32 v5, v1, v3
	v_fma_f32 v28, v30, v6, -v0
	ds_read_b128 v[0:3], v18 offset:128
	ds_read2_b64 v[24:27], v22 offset1:32
	v_mul_f32_e32 v7, v30, v7
	v_fmac_f32_e32 v7, v31, v6
	v_add_f32_e32 v4, v4, v28
	ds_read_b128 v[28:31], v18 offset:144
	ds_read2_b64 v[32:35], v22 offset0:64 offset1:96
	s_waitcnt lgkmcnt(2)
	v_mul_f32_e32 v6, v25, v1
	v_fma_f32 v6, v24, v0, -v6
	v_mul_f32_e32 v1, v24, v1
	v_add_f32_e32 v5, v5, v7
	v_fmac_f32_e32 v1, v25, v0
	v_add_f32_e32 v0, v4, v6
	v_mul_f32_e32 v4, v27, v3
	v_mul_f32_e32 v3, v26, v3
	v_add_f32_e32 v1, v5, v1
	v_fma_f32 v4, v26, v2, -v4
	v_fmac_f32_e32 v3, v27, v2
	s_waitcnt lgkmcnt(0)
	v_mul_f32_e32 v2, v33, v29
	v_add_f32_e32 v0, v0, v4
	v_add_f32_e32 v1, v1, v3
	v_fma_f32 v2, v32, v28, -v2
	v_mul_f32_e32 v3, v32, v29
	v_fmac_f32_e32 v3, v33, v28
	v_add_f32_e32 v24, v0, v2
	v_mul_f32_e32 v0, v35, v31
	v_add_f32_e32 v25, v1, v3
	v_fma_f32 v26, v34, v30, -v0
	ds_read_b128 v[0:3], v18 offset:160
	ds_read2_b64 v[4:7], v22 offset0:128 offset1:160
	global_load_dwordx2 v[32:33], v[14:15], off
	v_mul_f32_e32 v27, v34, v31
	v_fmac_f32_e32 v27, v35, v30
	v_add_f32_e32 v28, v24, v26
	s_waitcnt lgkmcnt(0)
	v_mul_f32_e32 v30, v5, v1
	v_mul_f32_e32 v1, v4, v1
	v_add_f32_e32 v29, v25, v27
	v_fma_f32 v30, v4, v0, -v30
	v_fmac_f32_e32 v1, v5, v0
	ds_read_b128 v[24:27], v18 offset:176
	v_add_f32_e32 v0, v28, v30
	v_add_f32_e32 v1, v29, v1
	ds_read2_b64 v[28:31], v22 offset0:192 offset1:224
	v_mul_f32_e32 v4, v7, v3
	v_mul_f32_e32 v3, v6, v3
	v_fma_f32 v4, v6, v2, -v4
	v_fmac_f32_e32 v3, v7, v2
	s_waitcnt lgkmcnt(0)
	v_mul_f32_e32 v2, v29, v25
	v_add_f32_e32 v0, v0, v4
	v_add_f32_e32 v1, v1, v3
	v_fma_f32 v2, v28, v24, -v2
	v_mul_f32_e32 v3, v28, v25
	v_fmac_f32_e32 v3, v29, v24
	v_add_f32_e32 v24, v0, v2
	v_mul_f32_e32 v0, v31, v27
	v_add_f32_e32 v25, v1, v3
	v_fma_f32 v28, v30, v26, -v0
	ds_read_b128 v[0:3], v18 offset:192
	ds_read2_b64 v[4:7], v23 offset1:32
	v_mul_f32_e32 v27, v30, v27
	v_fmac_f32_e32 v27, v31, v26
	v_add_f32_e32 v28, v24, v28
	v_add_f32_e32 v29, v25, v27
	s_waitcnt lgkmcnt(0)
	v_mul_f32_e32 v30, v5, v1
	v_mul_f32_e32 v1, v4, v1
	v_fma_f32 v30, v4, v0, -v30
	v_fmac_f32_e32 v1, v5, v0
	ds_read_b128 v[24:27], v18 offset:208
	v_add_f32_e32 v0, v28, v30
	v_add_f32_e32 v1, v29, v1
	ds_read2_b64 v[28:31], v23 offset0:64 offset1:96
	v_mul_f32_e32 v4, v7, v3
	v_mul_f32_e32 v3, v6, v3
	v_fma_f32 v4, v6, v2, -v4
	v_fmac_f32_e32 v3, v7, v2
	s_waitcnt lgkmcnt(0)
	v_mul_f32_e32 v2, v29, v25
	v_add_f32_e32 v0, v0, v4
	v_add_f32_e32 v1, v1, v3
	v_fma_f32 v2, v28, v24, -v2
	v_mul_f32_e32 v3, v28, v25
	v_fmac_f32_e32 v3, v29, v24
	v_add_f32_e32 v24, v0, v2
	v_mul_f32_e32 v0, v31, v27
	v_add_f32_e32 v25, v1, v3
	v_fma_f32 v28, v30, v26, -v0
	ds_read_b128 v[0:3], v18 offset:224
	ds_read2_b64 v[4:7], v23 offset0:128 offset1:160
	v_mul_f32_e32 v27, v30, v27
	v_fmac_f32_e32 v27, v31, v26
	v_add_f32_e32 v28, v24, v28
	v_add_f32_e32 v29, v25, v27
	s_waitcnt lgkmcnt(0)
	v_mul_f32_e32 v30, v5, v1
	v_mul_f32_e32 v1, v4, v1
	v_fma_f32 v30, v4, v0, -v30
	v_fmac_f32_e32 v1, v5, v0
	ds_read_b128 v[24:27], v18 offset:240
	v_add_f32_e32 v0, v28, v30
	v_add_f32_e32 v1, v29, v1
	ds_read2_b64 v[28:31], v23 offset0:192 offset1:224
	v_mul_f32_e32 v4, v7, v3
	v_mul_f32_e32 v3, v6, v3
	v_fmac_f32_e32 v3, v7, v2
	v_fma_f32 v4, v6, v2, -v4
	v_add_f32_e32 v1, v1, v3
	s_waitcnt lgkmcnt(0)
	v_mul_f32_e32 v2, v29, v25
	v_mul_f32_e32 v3, v28, v25
	v_add_f32_e32 v0, v0, v4
	v_fma_f32 v2, v28, v24, -v2
	v_fmac_f32_e32 v3, v29, v24
	v_add_f32_e32 v0, v0, v2
	v_add_f32_e32 v1, v1, v3
	v_mul_f32_e32 v2, v31, v27
	v_mul_f32_e32 v3, v30, v27
	v_fma_f32 v2, v30, v26, -v2
	v_fmac_f32_e32 v3, v31, v26
	v_add_f32_e32 v0, v0, v2
	v_add_f32_e32 v2, v1, v3
	v_pk_mul_f32 v[2:3], s[16:17], v[2:3] op_sel_hi:[1,0]
	s_nop 0
	v_pk_fma_f32 v[4:5], s[34:35], v[0:1], v[2:3] neg_lo:[0,0,1] neg_hi:[0,0,1]
	v_pk_fma_f32 v[0:1], s[34:35], v[0:1], v[2:3] op_sel_hi:[1,0,1]
	s_nop 0
	v_mov_b32_e32 v5, v1
	s_waitcnt vmcnt(0)
	v_pk_add_f32 v[0:1], v[32:33], v[4:5]
	global_store_dwordx2 v[14:15], v[0:1], off
	s_branch .LBB13_6
.LBB13_13:
	s_endpgm
	.section	.rodata,"a",@progbits
	.p2align	6, 0x0
	.amdhsa_kernel _ZL24rocblas_symm_hemm_kernelILb0ELb0ELi32EPK19rocblas_complex_numIfES3_PS1_EvbiiT2_T3_lllS6_lllT4_llli
		.amdhsa_group_segment_fixed_size 16384
		.amdhsa_private_segment_fixed_size 0
		.amdhsa_kernarg_size 384
		.amdhsa_user_sgpr_count 2
		.amdhsa_user_sgpr_dispatch_ptr 0
		.amdhsa_user_sgpr_queue_ptr 0
		.amdhsa_user_sgpr_kernarg_segment_ptr 1
		.amdhsa_user_sgpr_dispatch_id 0
		.amdhsa_user_sgpr_kernarg_preload_length 0
		.amdhsa_user_sgpr_kernarg_preload_offset 0
		.amdhsa_user_sgpr_private_segment_size 0
		.amdhsa_uses_dynamic_stack 0
		.amdhsa_enable_private_segment 0
		.amdhsa_system_sgpr_workgroup_id_x 1
		.amdhsa_system_sgpr_workgroup_id_y 1
		.amdhsa_system_sgpr_workgroup_id_z 1
		.amdhsa_system_sgpr_workgroup_info 0
		.amdhsa_system_vgpr_workitem_id 1
		.amdhsa_next_free_vgpr 40
		.amdhsa_next_free_sgpr 40
		.amdhsa_accum_offset 40
		.amdhsa_reserve_vcc 1
		.amdhsa_float_round_mode_32 0
		.amdhsa_float_round_mode_16_64 0
		.amdhsa_float_denorm_mode_32 3
		.amdhsa_float_denorm_mode_16_64 3
		.amdhsa_dx10_clamp 1
		.amdhsa_ieee_mode 1
		.amdhsa_fp16_overflow 0
		.amdhsa_tg_split 0
		.amdhsa_exception_fp_ieee_invalid_op 0
		.amdhsa_exception_fp_denorm_src 0
		.amdhsa_exception_fp_ieee_div_zero 0
		.amdhsa_exception_fp_ieee_overflow 0
		.amdhsa_exception_fp_ieee_underflow 0
		.amdhsa_exception_fp_ieee_inexact 0
		.amdhsa_exception_int_div_zero 0
	.end_amdhsa_kernel
	.section	.text._ZL24rocblas_symm_hemm_kernelILb0ELb0ELi32EPK19rocblas_complex_numIfES3_PS1_EvbiiT2_T3_lllS6_lllT4_llli,"axG",@progbits,_ZL24rocblas_symm_hemm_kernelILb0ELb0ELi32EPK19rocblas_complex_numIfES3_PS1_EvbiiT2_T3_lllS6_lllT4_llli,comdat
.Lfunc_end13:
	.size	_ZL24rocblas_symm_hemm_kernelILb0ELb0ELi32EPK19rocblas_complex_numIfES3_PS1_EvbiiT2_T3_lllS6_lllT4_llli, .Lfunc_end13-_ZL24rocblas_symm_hemm_kernelILb0ELb0ELi32EPK19rocblas_complex_numIfES3_PS1_EvbiiT2_T3_lllS6_lllT4_llli
                                        ; -- End function
	.set _ZL24rocblas_symm_hemm_kernelILb0ELb0ELi32EPK19rocblas_complex_numIfES3_PS1_EvbiiT2_T3_lllS6_lllT4_llli.num_vgpr, 40
	.set _ZL24rocblas_symm_hemm_kernelILb0ELb0ELi32EPK19rocblas_complex_numIfES3_PS1_EvbiiT2_T3_lllS6_lllT4_llli.num_agpr, 0
	.set _ZL24rocblas_symm_hemm_kernelILb0ELb0ELi32EPK19rocblas_complex_numIfES3_PS1_EvbiiT2_T3_lllS6_lllT4_llli.numbered_sgpr, 40
	.set _ZL24rocblas_symm_hemm_kernelILb0ELb0ELi32EPK19rocblas_complex_numIfES3_PS1_EvbiiT2_T3_lllS6_lllT4_llli.num_named_barrier, 0
	.set _ZL24rocblas_symm_hemm_kernelILb0ELb0ELi32EPK19rocblas_complex_numIfES3_PS1_EvbiiT2_T3_lllS6_lllT4_llli.private_seg_size, 0
	.set _ZL24rocblas_symm_hemm_kernelILb0ELb0ELi32EPK19rocblas_complex_numIfES3_PS1_EvbiiT2_T3_lllS6_lllT4_llli.uses_vcc, 1
	.set _ZL24rocblas_symm_hemm_kernelILb0ELb0ELi32EPK19rocblas_complex_numIfES3_PS1_EvbiiT2_T3_lllS6_lllT4_llli.uses_flat_scratch, 0
	.set _ZL24rocblas_symm_hemm_kernelILb0ELb0ELi32EPK19rocblas_complex_numIfES3_PS1_EvbiiT2_T3_lllS6_lllT4_llli.has_dyn_sized_stack, 0
	.set _ZL24rocblas_symm_hemm_kernelILb0ELb0ELi32EPK19rocblas_complex_numIfES3_PS1_EvbiiT2_T3_lllS6_lllT4_llli.has_recursion, 0
	.set _ZL24rocblas_symm_hemm_kernelILb0ELb0ELi32EPK19rocblas_complex_numIfES3_PS1_EvbiiT2_T3_lllS6_lllT4_llli.has_indirect_call, 0
	.section	.AMDGPU.csdata,"",@progbits
; Kernel info:
; codeLenInByte = 2052
; TotalNumSgprs: 46
; NumVgprs: 40
; NumAgprs: 0
; TotalNumVgprs: 40
; ScratchSize: 0
; MemoryBound: 0
; FloatMode: 240
; IeeeMode: 1
; LDSByteSize: 16384 bytes/workgroup (compile time only)
; SGPRBlocks: 5
; VGPRBlocks: 4
; NumSGPRsForWavesPerEU: 46
; NumVGPRsForWavesPerEU: 40
; AccumOffset: 40
; Occupancy: 8
; WaveLimiterHint : 0
; COMPUTE_PGM_RSRC2:SCRATCH_EN: 0
; COMPUTE_PGM_RSRC2:USER_SGPR: 2
; COMPUTE_PGM_RSRC2:TRAP_HANDLER: 0
; COMPUTE_PGM_RSRC2:TGID_X_EN: 1
; COMPUTE_PGM_RSRC2:TGID_Y_EN: 1
; COMPUTE_PGM_RSRC2:TGID_Z_EN: 1
; COMPUTE_PGM_RSRC2:TIDIG_COMP_CNT: 1
; COMPUTE_PGM_RSRC3_GFX90A:ACCUM_OFFSET: 9
; COMPUTE_PGM_RSRC3_GFX90A:TG_SPLIT: 0
	.section	.text._ZL24rocblas_symm_hemm_kernelILb0ELb1ELi32EPK19rocblas_complex_numIfES3_PS1_EvbiiT2_T3_lllS6_lllT4_llli,"axG",@progbits,_ZL24rocblas_symm_hemm_kernelILb0ELb1ELi32EPK19rocblas_complex_numIfES3_PS1_EvbiiT2_T3_lllS6_lllT4_llli,comdat
	.globl	_ZL24rocblas_symm_hemm_kernelILb0ELb1ELi32EPK19rocblas_complex_numIfES3_PS1_EvbiiT2_T3_lllS6_lllT4_llli ; -- Begin function _ZL24rocblas_symm_hemm_kernelILb0ELb1ELi32EPK19rocblas_complex_numIfES3_PS1_EvbiiT2_T3_lllS6_lllT4_llli
	.p2align	8
	.type	_ZL24rocblas_symm_hemm_kernelILb0ELb1ELi32EPK19rocblas_complex_numIfES3_PS1_EvbiiT2_T3_lllS6_lllT4_llli,@function
_ZL24rocblas_symm_hemm_kernelILb0ELb1ELi32EPK19rocblas_complex_numIfES3_PS1_EvbiiT2_T3_lllS6_lllT4_llli: ; @_ZL24rocblas_symm_hemm_kernelILb0ELb1ELi32EPK19rocblas_complex_numIfES3_PS1_EvbiiT2_T3_lllS6_lllT4_llli
; %bb.0:
	s_load_dwordx16 s[8:23], s[0:1], 0x10
	s_waitcnt lgkmcnt(0)
	s_load_dwordx2 s[34:35], s[8:9], 0x0
	s_waitcnt lgkmcnt(0)
	v_cmp_eq_f32_e64 s[6:7], s34, 0
	v_cmp_eq_f32_e64 s[8:9], s35, 0
	s_and_b64 s[6:7], s[6:7], s[8:9]
	s_and_b64 vcc, exec, s[6:7]
	s_cbranch_vccnz .LBB14_13
; %bb.1:
	s_load_dwordx4 s[36:39], s[0:1], 0x0
	s_waitcnt lgkmcnt(0)
	s_add_i32 s5, s38, -1
	s_ashr_i32 s6, s5, 31
	s_lshr_b32 s6, s6, 27
	s_add_i32 s5, s5, s6
	s_ashr_i32 s33, s5, 5
	s_cmp_gt_i32 s3, s33
	s_cbranch_scc1 .LBB14_13
; %bb.2:
	s_mul_i32 s5, s17, s4
	s_mul_hi_u32 s6, s16, s4
	s_add_i32 s7, s6, s5
	s_mul_i32 s6, s16, s4
	s_lshl_b64 s[6:7], s[6:7], 3
	s_add_u32 s5, s10, s6
	s_addc_u32 s9, s11, s7
	s_load_dwordx2 s[10:11], s[0:1], 0x70
	s_lshl_b64 s[6:7], s[12:13], 3
	s_add_u32 s8, s5, s6
	s_addc_u32 s9, s9, s7
	s_bitcmp1_b32 s36, 0
	s_load_dwordx8 s[24:31], s[0:1], 0x50
	s_load_dword s36, s[0:1], 0x84
	s_waitcnt lgkmcnt(0)
	s_mul_i32 s0, s11, s4
	s_mul_hi_u32 s1, s10, s4
	s_cselect_b64 s[6:7], -1, 0
	s_add_i32 s1, s1, s0
	s_mul_i32 s0, s10, s4
	s_lshl_b64 s[0:1], s[0:1], 3
	s_add_u32 s5, s26, s0
	s_addc_u32 s11, s27, s1
	s_lshl_b64 s[0:1], s[28:29], 3
	s_add_u32 s10, s5, s0
	s_addc_u32 s11, s11, s1
	s_mul_i32 s0, s25, s4
	s_mul_hi_u32 s1, s24, s4
	s_add_i32 s1, s1, s0
	s_mul_i32 s0, s24, s4
	s_lshl_b64 s[0:1], s[0:1], 3
	s_add_u32 s4, s18, s0
	s_addc_u32 s5, s19, s1
	s_lshl_b64 s[0:1], s[20:21], 3
	v_and_b32_e32 v14, 0x3ff, v0
	s_add_u32 s4, s4, s0
	v_lshl_add_u32 v2, s2, 5, v14
	s_addc_u32 s5, s5, s1
	v_ashrrev_i32_e32 v3, 31, v2
	v_bfe_u32 v15, v0, 10, 10
	s_cmp_gt_i32 s38, 0
	v_lshlrev_b64 v[0:1], 3, v[2:3]
	v_cmp_gt_i32_e64 s[0:1], s37, v2
	v_lshl_add_u64 v[8:9], s[4:5], 0, v[0:1]
	v_lshlrev_b32_e32 v2, 3, v15
	s_cselect_b64 s[4:5], -1, 0
	v_lshlrev_b32_e32 v16, 8, v14
	v_or_b32_e32 v18, 0x2000, v2
	v_lshl_add_u64 v[10:11], s[10:11], 0, v[0:1]
	v_cndmask_b32_e64 v0, 0, 1, s[4:5]
	v_add_u32_e32 v17, v16, v2
	v_add_u32_e32 v19, v18, v16
	s_mov_b32 s10, s35
	s_mov_b32 s11, s34
	v_cmp_ne_u32_e64 s[4:5], 1, v0
	v_add_u32_e32 v20, 0x800, v18
	v_add_u32_e32 v21, 0x1000, v18
	;; [unrolled: 1-line block ×3, first 2 shown]
	s_branch .LBB14_4
.LBB14_3:                               ;   in Loop: Header=BB14_4 Depth=1
	s_add_i32 s3, s3, s36
	s_cmp_gt_i32 s3, s33
	s_cbranch_scc1 .LBB14_13
.LBB14_4:                               ; =>This Loop Header: Depth=1
                                        ;     Child Loop BB14_7 Depth 2
	s_and_b64 vcc, exec, s[4:5]
	s_cbranch_vccnz .LBB14_3
; %bb.5:                                ;   in Loop: Header=BB14_4 Depth=1
	v_lshl_add_u32 v23, s3, 5, v15
	v_ashrrev_i32_e32 v0, 31, v23
	v_mul_lo_u32 v2, s30, v0
	v_mul_lo_u32 v3, s31, v23
	v_mad_u64_u32 v[0:1], s[16:17], s30, v23, 0
	v_cmp_gt_i32_e32 vcc, s38, v23
	v_add3_u32 v1, v1, v2, v3
	s_and_b64 s[12:13], s[0:1], vcc
	v_lshl_add_u64 v[12:13], v[0:1], 3, v[10:11]
	s_mov_b32 s2, 0
	s_branch .LBB14_7
.LBB14_6:                               ;   in Loop: Header=BB14_7 Depth=2
	s_or_b64 exec, exec, s[16:17]
	s_add_i32 s2, s2, 32
	s_cmp_ge_i32 s2, s38
	s_barrier
	s_cbranch_scc1 .LBB14_3
.LBB14_7:                               ;   Parent Loop BB14_4 Depth=1
                                        ; =>  This Inner Loop Header: Depth=2
	v_add_u32_e32 v1, s2, v15
	v_cmp_gt_i32_e32 vcc, s38, v1
	s_and_b64 s[18:19], s[0:1], vcc
	v_mov_b32_e32 v0, 0
	v_mov_b32_e32 v2, 0
	;; [unrolled: 1-line block ×3, first 2 shown]
	s_and_saveexec_b64 s[16:17], s[18:19]
	s_cbranch_execz .LBB14_9
; %bb.8:                                ;   in Loop: Header=BB14_7 Depth=2
	v_ashrrev_i32_e32 v2, 31, v1
	v_mul_lo_u32 v4, s23, v1
	v_mul_lo_u32 v5, s22, v2
	v_mad_u64_u32 v[2:3], s[18:19], s22, v1, 0
	v_add3_u32 v3, v3, v5, v4
	v_lshl_add_u64 v[2:3], v[2:3], 3, v[8:9]
	global_load_dwordx2 v[2:3], v[2:3], off
.LBB14_9:                               ;   in Loop: Header=BB14_7 Depth=2
	s_or_b64 exec, exec, s[16:17]
	v_add_u32_e32 v1, s2, v14
	s_waitcnt vmcnt(0)
	ds_write_b64 v17, v[2:3]
	v_cndmask_b32_e64 v2, v23, v1, s[6:7]
	v_cndmask_b32_e64 v3, v1, v23, s[6:7]
	v_cmp_gt_i32_e32 vcc, v2, v3
	s_nop 1
	v_cndmask_b32_e32 v2, v1, v23, vcc
	v_cndmask_b32_e32 v3, v23, v1, vcc
	v_max_i32_e32 v1, v2, v3
	v_cmp_gt_i32_e32 vcc, s38, v1
	v_mov_b32_e32 v1, 0
	s_and_saveexec_b64 s[16:17], vcc
	s_cbranch_execz .LBB14_11
; %bb.10:                               ;   in Loop: Header=BB14_7 Depth=2
	v_ashrrev_i32_e32 v0, 31, v3
	v_mul_lo_u32 v4, s15, v3
	v_mul_lo_u32 v5, s14, v0
	v_mad_u64_u32 v[0:1], s[18:19], s14, v3, 0
	v_add3_u32 v1, v1, v5, v4
	v_ashrrev_i32_e32 v3, 31, v2
	v_lshl_add_u64 v[0:1], v[0:1], 3, s[8:9]
	v_lshl_add_u64 v[0:1], v[2:3], 3, v[0:1]
	global_load_dwordx2 v[0:1], v[0:1], off
.LBB14_11:                              ;   in Loop: Header=BB14_7 Depth=2
	s_or_b64 exec, exec, s[16:17]
	s_waitcnt vmcnt(0)
	ds_write_b64 v19, v[0:1]
	s_waitcnt lgkmcnt(0)
	s_barrier
	s_and_saveexec_b64 s[16:17], s[12:13]
	s_cbranch_execz .LBB14_6
; %bb.12:                               ;   in Loop: Header=BB14_7 Depth=2
	ds_read2_b64 v[0:3], v18 offset1:32
	ds_read_b128 v[4:7], v16
	ds_read_b128 v[24:27], v16 offset:16
	ds_read_b128 v[28:31], v16 offset:32
	;; [unrolled: 1-line block ×3, first 2 shown]
	s_waitcnt lgkmcnt(3)
	v_mul_f32_e32 v36, v1, v5
	v_fma_f32 v36, v0, v4, -v36
	v_mul_f32_e32 v0, v0, v5
	v_fmac_f32_e32 v0, v1, v4
	v_add_f32_e32 v1, 0, v36
	ds_read2_b64 v[36:39], v18 offset0:64 offset1:96
	v_mul_f32_e32 v4, v3, v7
	v_fma_f32 v4, v2, v6, -v4
	v_mul_f32_e32 v2, v2, v7
	v_add_f32_e32 v0, 0, v0
	v_fmac_f32_e32 v2, v3, v6
	s_waitcnt lgkmcnt(0)
	v_mul_f32_e32 v3, v36, v25
	v_add_f32_e32 v0, v0, v2
	v_mul_f32_e32 v2, v37, v25
	v_fmac_f32_e32 v3, v37, v24
	v_add_f32_e32 v1, v1, v4
	v_fma_f32 v2, v36, v24, -v2
	v_add_f32_e32 v5, v0, v3
	v_mul_f32_e32 v0, v39, v27
	v_add_f32_e32 v4, v1, v2
	v_fma_f32 v6, v38, v26, -v0
	ds_read2_b64 v[0:3], v18 offset0:128 offset1:160
	v_mul_f32_e32 v7, v38, v27
	v_add_f32_e32 v4, v4, v6
	v_fmac_f32_e32 v7, v39, v26
	v_add_f32_e32 v5, v5, v7
	s_waitcnt lgkmcnt(0)
	v_mul_f32_e32 v6, v1, v29
	v_fma_f32 v6, v0, v28, -v6
	v_mul_f32_e32 v0, v0, v29
	v_fmac_f32_e32 v0, v1, v28
	v_add_f32_e32 v1, v4, v6
	v_mul_f32_e32 v4, v3, v31
	v_add_f32_e32 v0, v5, v0
	v_fma_f32 v24, v2, v30, -v4
	ds_read2_b64 v[4:7], v18 offset0:192 offset1:224
	v_mul_f32_e32 v2, v2, v31
	v_fmac_f32_e32 v2, v3, v30
	v_add_f32_e32 v0, v0, v2
	v_add_f32_e32 v1, v1, v24
	s_waitcnt lgkmcnt(0)
	v_mul_f32_e32 v3, v4, v33
	v_mul_f32_e32 v2, v5, v33
	v_fmac_f32_e32 v3, v5, v32
	v_fma_f32 v2, v4, v32, -v2
	v_add_f32_e32 v5, v0, v3
	v_mul_f32_e32 v0, v7, v35
	v_add_f32_e32 v4, v1, v2
	v_fma_f32 v28, v6, v34, -v0
	ds_read_b128 v[0:3], v16 offset:64
	ds_read2_b64 v[24:27], v20 offset1:32
	v_mul_f32_e32 v6, v6, v35
	v_fmac_f32_e32 v6, v7, v34
	v_add_f32_e32 v28, v4, v28
	v_add_f32_e32 v29, v5, v6
	s_waitcnt lgkmcnt(0)
	v_mul_f32_e32 v30, v25, v1
	v_mul_f32_e32 v1, v24, v1
	v_fma_f32 v30, v24, v0, -v30
	v_fmac_f32_e32 v1, v25, v0
	ds_read_b128 v[4:7], v16 offset:80
	v_add_f32_e32 v0, v28, v30
	v_add_f32_e32 v1, v29, v1
	ds_read2_b64 v[28:31], v20 offset0:64 offset1:96
	v_mul_f32_e32 v24, v27, v3
	v_mul_f32_e32 v3, v26, v3
	v_fma_f32 v24, v26, v2, -v24
	v_fmac_f32_e32 v3, v27, v2
	s_waitcnt lgkmcnt(0)
	v_mul_f32_e32 v2, v29, v5
	v_add_f32_e32 v0, v0, v24
	v_add_f32_e32 v1, v1, v3
	v_fma_f32 v2, v28, v4, -v2
	v_mul_f32_e32 v3, v28, v5
	v_fmac_f32_e32 v3, v29, v4
	v_add_f32_e32 v4, v0, v2
	v_mul_f32_e32 v0, v31, v7
	v_add_f32_e32 v5, v1, v3
	v_fma_f32 v28, v30, v6, -v0
	ds_read_b128 v[0:3], v16 offset:96
	ds_read2_b64 v[24:27], v20 offset0:128 offset1:160
	v_mul_f32_e32 v7, v30, v7
	v_fmac_f32_e32 v7, v31, v6
	v_add_f32_e32 v28, v4, v28
	v_add_f32_e32 v29, v5, v7
	s_waitcnt lgkmcnt(0)
	v_mul_f32_e32 v30, v25, v1
	v_mul_f32_e32 v1, v24, v1
	v_fma_f32 v30, v24, v0, -v30
	v_fmac_f32_e32 v1, v25, v0
	ds_read_b128 v[4:7], v16 offset:112
	v_add_f32_e32 v0, v28, v30
	v_add_f32_e32 v1, v29, v1
	ds_read2_b64 v[28:31], v20 offset0:192 offset1:224
	v_mul_f32_e32 v24, v27, v3
	v_mul_f32_e32 v3, v26, v3
	v_fma_f32 v24, v26, v2, -v24
	v_fmac_f32_e32 v3, v27, v2
	s_waitcnt lgkmcnt(0)
	v_mul_f32_e32 v2, v29, v5
	v_add_f32_e32 v0, v0, v24
	v_add_f32_e32 v1, v1, v3
	v_fma_f32 v2, v28, v4, -v2
	v_mul_f32_e32 v3, v28, v5
	v_fmac_f32_e32 v3, v29, v4
	v_add_f32_e32 v4, v0, v2
	v_mul_f32_e32 v0, v31, v7
	v_add_f32_e32 v5, v1, v3
	v_fma_f32 v28, v30, v6, -v0
	ds_read_b128 v[0:3], v16 offset:128
	ds_read2_b64 v[24:27], v21 offset1:32
	v_mul_f32_e32 v7, v30, v7
	v_fmac_f32_e32 v7, v31, v6
	v_add_f32_e32 v4, v4, v28
	ds_read_b128 v[28:31], v16 offset:144
	ds_read2_b64 v[32:35], v21 offset0:64 offset1:96
	s_waitcnt lgkmcnt(2)
	v_mul_f32_e32 v6, v25, v1
	v_fma_f32 v6, v24, v0, -v6
	v_mul_f32_e32 v1, v24, v1
	v_add_f32_e32 v5, v5, v7
	v_fmac_f32_e32 v1, v25, v0
	v_add_f32_e32 v0, v4, v6
	v_mul_f32_e32 v4, v27, v3
	v_mul_f32_e32 v3, v26, v3
	v_add_f32_e32 v1, v5, v1
	v_fma_f32 v4, v26, v2, -v4
	v_fmac_f32_e32 v3, v27, v2
	s_waitcnt lgkmcnt(0)
	v_mul_f32_e32 v2, v33, v29
	v_add_f32_e32 v0, v0, v4
	v_add_f32_e32 v1, v1, v3
	v_fma_f32 v2, v32, v28, -v2
	v_mul_f32_e32 v3, v32, v29
	v_fmac_f32_e32 v3, v33, v28
	v_add_f32_e32 v24, v0, v2
	v_mul_f32_e32 v0, v35, v31
	v_add_f32_e32 v25, v1, v3
	v_fma_f32 v26, v34, v30, -v0
	ds_read_b128 v[0:3], v16 offset:160
	ds_read2_b64 v[4:7], v21 offset0:128 offset1:160
	global_load_dwordx2 v[32:33], v[12:13], off
	v_mul_f32_e32 v27, v34, v31
	v_fmac_f32_e32 v27, v35, v30
	v_add_f32_e32 v28, v24, v26
	s_waitcnt lgkmcnt(0)
	v_mul_f32_e32 v30, v5, v1
	v_mul_f32_e32 v1, v4, v1
	v_add_f32_e32 v29, v25, v27
	v_fma_f32 v30, v4, v0, -v30
	v_fmac_f32_e32 v1, v5, v0
	ds_read_b128 v[24:27], v16 offset:176
	v_add_f32_e32 v0, v28, v30
	v_add_f32_e32 v1, v29, v1
	ds_read2_b64 v[28:31], v21 offset0:192 offset1:224
	v_mul_f32_e32 v4, v7, v3
	v_mul_f32_e32 v3, v6, v3
	v_fma_f32 v4, v6, v2, -v4
	v_fmac_f32_e32 v3, v7, v2
	s_waitcnt lgkmcnt(0)
	v_mul_f32_e32 v2, v29, v25
	v_add_f32_e32 v0, v0, v4
	v_add_f32_e32 v1, v1, v3
	v_fma_f32 v2, v28, v24, -v2
	v_mul_f32_e32 v3, v28, v25
	v_fmac_f32_e32 v3, v29, v24
	v_add_f32_e32 v24, v0, v2
	v_mul_f32_e32 v0, v31, v27
	v_add_f32_e32 v25, v1, v3
	v_fma_f32 v28, v30, v26, -v0
	ds_read_b128 v[0:3], v16 offset:192
	ds_read2_b64 v[4:7], v22 offset1:32
	v_mul_f32_e32 v27, v30, v27
	v_fmac_f32_e32 v27, v31, v26
	v_add_f32_e32 v28, v24, v28
	v_add_f32_e32 v29, v25, v27
	s_waitcnt lgkmcnt(0)
	v_mul_f32_e32 v30, v5, v1
	v_mul_f32_e32 v1, v4, v1
	v_fma_f32 v30, v4, v0, -v30
	v_fmac_f32_e32 v1, v5, v0
	ds_read_b128 v[24:27], v16 offset:208
	v_add_f32_e32 v0, v28, v30
	v_add_f32_e32 v1, v29, v1
	ds_read2_b64 v[28:31], v22 offset0:64 offset1:96
	v_mul_f32_e32 v4, v7, v3
	v_mul_f32_e32 v3, v6, v3
	v_fma_f32 v4, v6, v2, -v4
	v_fmac_f32_e32 v3, v7, v2
	s_waitcnt lgkmcnt(0)
	v_mul_f32_e32 v2, v29, v25
	v_add_f32_e32 v0, v0, v4
	v_add_f32_e32 v1, v1, v3
	v_fma_f32 v2, v28, v24, -v2
	v_mul_f32_e32 v3, v28, v25
	v_fmac_f32_e32 v3, v29, v24
	v_add_f32_e32 v24, v0, v2
	v_mul_f32_e32 v0, v31, v27
	v_add_f32_e32 v25, v1, v3
	v_fma_f32 v28, v30, v26, -v0
	ds_read_b128 v[0:3], v16 offset:224
	ds_read2_b64 v[4:7], v22 offset0:128 offset1:160
	v_mul_f32_e32 v27, v30, v27
	v_fmac_f32_e32 v27, v31, v26
	v_add_f32_e32 v28, v24, v28
	v_add_f32_e32 v29, v25, v27
	s_waitcnt lgkmcnt(0)
	v_mul_f32_e32 v30, v5, v1
	v_mul_f32_e32 v1, v4, v1
	v_fma_f32 v30, v4, v0, -v30
	v_fmac_f32_e32 v1, v5, v0
	ds_read_b128 v[24:27], v16 offset:240
	v_add_f32_e32 v0, v28, v30
	v_add_f32_e32 v1, v29, v1
	ds_read2_b64 v[28:31], v22 offset0:192 offset1:224
	v_mul_f32_e32 v4, v7, v3
	v_mul_f32_e32 v3, v6, v3
	v_fmac_f32_e32 v3, v7, v2
	v_fma_f32 v4, v6, v2, -v4
	v_add_f32_e32 v1, v1, v3
	s_waitcnt lgkmcnt(0)
	v_mul_f32_e32 v2, v29, v25
	v_mul_f32_e32 v3, v28, v25
	v_add_f32_e32 v0, v0, v4
	v_fma_f32 v2, v28, v24, -v2
	v_fmac_f32_e32 v3, v29, v24
	v_add_f32_e32 v0, v0, v2
	v_add_f32_e32 v1, v1, v3
	v_mul_f32_e32 v2, v31, v27
	v_mul_f32_e32 v3, v30, v27
	v_fma_f32 v2, v30, v26, -v2
	v_fmac_f32_e32 v3, v31, v26
	v_add_f32_e32 v0, v0, v2
	v_add_f32_e32 v2, v1, v3
	v_pk_mul_f32 v[2:3], s[10:11], v[2:3] op_sel_hi:[1,0]
	s_nop 0
	v_pk_fma_f32 v[4:5], s[34:35], v[0:1], v[2:3] neg_lo:[0,0,1] neg_hi:[0,0,1]
	v_pk_fma_f32 v[0:1], s[34:35], v[0:1], v[2:3] op_sel_hi:[1,0,1]
	s_nop 0
	v_mov_b32_e32 v5, v1
	s_waitcnt vmcnt(0)
	v_pk_add_f32 v[0:1], v[32:33], v[4:5]
	global_store_dwordx2 v[12:13], v[0:1], off
	s_branch .LBB14_6
.LBB14_13:
	s_endpgm
	.section	.rodata,"a",@progbits
	.p2align	6, 0x0
	.amdhsa_kernel _ZL24rocblas_symm_hemm_kernelILb0ELb1ELi32EPK19rocblas_complex_numIfES3_PS1_EvbiiT2_T3_lllS6_lllT4_llli
		.amdhsa_group_segment_fixed_size 16384
		.amdhsa_private_segment_fixed_size 0
		.amdhsa_kernarg_size 384
		.amdhsa_user_sgpr_count 2
		.amdhsa_user_sgpr_dispatch_ptr 0
		.amdhsa_user_sgpr_queue_ptr 0
		.amdhsa_user_sgpr_kernarg_segment_ptr 1
		.amdhsa_user_sgpr_dispatch_id 0
		.amdhsa_user_sgpr_kernarg_preload_length 0
		.amdhsa_user_sgpr_kernarg_preload_offset 0
		.amdhsa_user_sgpr_private_segment_size 0
		.amdhsa_uses_dynamic_stack 0
		.amdhsa_enable_private_segment 0
		.amdhsa_system_sgpr_workgroup_id_x 1
		.amdhsa_system_sgpr_workgroup_id_y 1
		.amdhsa_system_sgpr_workgroup_id_z 1
		.amdhsa_system_sgpr_workgroup_info 0
		.amdhsa_system_vgpr_workitem_id 1
		.amdhsa_next_free_vgpr 40
		.amdhsa_next_free_sgpr 40
		.amdhsa_accum_offset 40
		.amdhsa_reserve_vcc 1
		.amdhsa_float_round_mode_32 0
		.amdhsa_float_round_mode_16_64 0
		.amdhsa_float_denorm_mode_32 3
		.amdhsa_float_denorm_mode_16_64 3
		.amdhsa_dx10_clamp 1
		.amdhsa_ieee_mode 1
		.amdhsa_fp16_overflow 0
		.amdhsa_tg_split 0
		.amdhsa_exception_fp_ieee_invalid_op 0
		.amdhsa_exception_fp_denorm_src 0
		.amdhsa_exception_fp_ieee_div_zero 0
		.amdhsa_exception_fp_ieee_overflow 0
		.amdhsa_exception_fp_ieee_underflow 0
		.amdhsa_exception_fp_ieee_inexact 0
		.amdhsa_exception_int_div_zero 0
	.end_amdhsa_kernel
	.section	.text._ZL24rocblas_symm_hemm_kernelILb0ELb1ELi32EPK19rocblas_complex_numIfES3_PS1_EvbiiT2_T3_lllS6_lllT4_llli,"axG",@progbits,_ZL24rocblas_symm_hemm_kernelILb0ELb1ELi32EPK19rocblas_complex_numIfES3_PS1_EvbiiT2_T3_lllS6_lllT4_llli,comdat
.Lfunc_end14:
	.size	_ZL24rocblas_symm_hemm_kernelILb0ELb1ELi32EPK19rocblas_complex_numIfES3_PS1_EvbiiT2_T3_lllS6_lllT4_llli, .Lfunc_end14-_ZL24rocblas_symm_hemm_kernelILb0ELb1ELi32EPK19rocblas_complex_numIfES3_PS1_EvbiiT2_T3_lllS6_lllT4_llli
                                        ; -- End function
	.set _ZL24rocblas_symm_hemm_kernelILb0ELb1ELi32EPK19rocblas_complex_numIfES3_PS1_EvbiiT2_T3_lllS6_lllT4_llli.num_vgpr, 40
	.set _ZL24rocblas_symm_hemm_kernelILb0ELb1ELi32EPK19rocblas_complex_numIfES3_PS1_EvbiiT2_T3_lllS6_lllT4_llli.num_agpr, 0
	.set _ZL24rocblas_symm_hemm_kernelILb0ELb1ELi32EPK19rocblas_complex_numIfES3_PS1_EvbiiT2_T3_lllS6_lllT4_llli.numbered_sgpr, 40
	.set _ZL24rocblas_symm_hemm_kernelILb0ELb1ELi32EPK19rocblas_complex_numIfES3_PS1_EvbiiT2_T3_lllS6_lllT4_llli.num_named_barrier, 0
	.set _ZL24rocblas_symm_hemm_kernelILb0ELb1ELi32EPK19rocblas_complex_numIfES3_PS1_EvbiiT2_T3_lllS6_lllT4_llli.private_seg_size, 0
	.set _ZL24rocblas_symm_hemm_kernelILb0ELb1ELi32EPK19rocblas_complex_numIfES3_PS1_EvbiiT2_T3_lllS6_lllT4_llli.uses_vcc, 1
	.set _ZL24rocblas_symm_hemm_kernelILb0ELb1ELi32EPK19rocblas_complex_numIfES3_PS1_EvbiiT2_T3_lllS6_lllT4_llli.uses_flat_scratch, 0
	.set _ZL24rocblas_symm_hemm_kernelILb0ELb1ELi32EPK19rocblas_complex_numIfES3_PS1_EvbiiT2_T3_lllS6_lllT4_llli.has_dyn_sized_stack, 0
	.set _ZL24rocblas_symm_hemm_kernelILb0ELb1ELi32EPK19rocblas_complex_numIfES3_PS1_EvbiiT2_T3_lllS6_lllT4_llli.has_recursion, 0
	.set _ZL24rocblas_symm_hemm_kernelILb0ELb1ELi32EPK19rocblas_complex_numIfES3_PS1_EvbiiT2_T3_lllS6_lllT4_llli.has_indirect_call, 0
	.section	.AMDGPU.csdata,"",@progbits
; Kernel info:
; codeLenInByte = 2040
; TotalNumSgprs: 46
; NumVgprs: 40
; NumAgprs: 0
; TotalNumVgprs: 40
; ScratchSize: 0
; MemoryBound: 0
; FloatMode: 240
; IeeeMode: 1
; LDSByteSize: 16384 bytes/workgroup (compile time only)
; SGPRBlocks: 5
; VGPRBlocks: 4
; NumSGPRsForWavesPerEU: 46
; NumVGPRsForWavesPerEU: 40
; AccumOffset: 40
; Occupancy: 8
; WaveLimiterHint : 0
; COMPUTE_PGM_RSRC2:SCRATCH_EN: 0
; COMPUTE_PGM_RSRC2:USER_SGPR: 2
; COMPUTE_PGM_RSRC2:TRAP_HANDLER: 0
; COMPUTE_PGM_RSRC2:TGID_X_EN: 1
; COMPUTE_PGM_RSRC2:TGID_Y_EN: 1
; COMPUTE_PGM_RSRC2:TGID_Z_EN: 1
; COMPUTE_PGM_RSRC2:TIDIG_COMP_CNT: 1
; COMPUTE_PGM_RSRC3_GFX90A:ACCUM_OFFSET: 9
; COMPUTE_PGM_RSRC3_GFX90A:TG_SPLIT: 0
	.section	.text._ZL25rocblas_symm_scale_kernelILi128ELi8E19rocblas_complex_numIfEPS1_EviiT1_T2_llli,"axG",@progbits,_ZL25rocblas_symm_scale_kernelILi128ELi8E19rocblas_complex_numIfEPS1_EviiT1_T2_llli,comdat
	.globl	_ZL25rocblas_symm_scale_kernelILi128ELi8E19rocblas_complex_numIfEPS1_EviiT1_T2_llli ; -- Begin function _ZL25rocblas_symm_scale_kernelILi128ELi8E19rocblas_complex_numIfEPS1_EviiT1_T2_llli
	.p2align	8
	.type	_ZL25rocblas_symm_scale_kernelILi128ELi8E19rocblas_complex_numIfEPS1_EviiT1_T2_llli,@function
_ZL25rocblas_symm_scale_kernelILi128ELi8E19rocblas_complex_numIfEPS1_EviiT1_T2_llli: ; @_ZL25rocblas_symm_scale_kernelILi128ELi8E19rocblas_complex_numIfEPS1_EviiT1_T2_llli
; %bb.0:
	s_load_dwordx4 s[16:19], s[0:1], 0x0
	s_waitcnt lgkmcnt(0)
	v_cmp_eq_f32_e64 s[6:7], s19, 0
	v_cmp_eq_f32_e64 s[8:9], s18, 1.0
	s_and_b64 s[6:7], s[8:9], s[6:7]
	s_and_b64 vcc, exec, s[6:7]
	s_cbranch_vccnz .LBB15_6
; %bb.1:
	v_and_b32_e32 v1, 0x3ff, v0
	v_bfe_u32 v0, v0, 10, 10
	v_lshl_add_u32 v2, s2, 7, v1
	v_lshl_add_u32 v0, s3, 3, v0
	v_mov_b32_e32 v1, 0
	s_ashr_i32 s7, s17, 31
	s_mov_b32 s6, s17
	v_cmp_gt_u32_e32 vcc, s16, v2
	v_cmp_gt_i64_e64 s[2:3], s[6:7], v[0:1]
	s_and_b64 s[2:3], vcc, s[2:3]
	s_and_saveexec_b64 s[8:9], s[2:3]
	s_cbranch_execz .LBB15_6
; %bb.2:
	s_load_dwordx8 s[8:15], s[0:1], 0x10
	s_load_dword s5, s[0:1], 0x3c
	s_or_b32 s2, s18, s19
	s_bitset0_b32 s2, 31
	s_cmp_lg_u32 s2, 0
	s_cselect_b64 s[0:1], -1, 0
	s_waitcnt lgkmcnt(0)
	s_lshl_b32 s2, s5, 3
	s_mul_i32 s5, s15, s4
	s_mul_hi_u32 s15, s14, s4
	s_add_i32 s5, s15, s5
	s_mul_i32 s4, s14, s4
	v_mad_u64_u32 v[4:5], s[14:15], s12, v0, 0
	s_lshl_b64 s[4:5], s[4:5], 3
	v_mov_b32_e32 v6, v5
	s_lshl_b64 s[10:11], s[10:11], 3
	v_mad_u64_u32 v[6:7], s[14:15], s13, v0, v[6:7]
	s_add_u32 s4, s10, s4
	v_mov_b32_e32 v5, v6
	s_addc_u32 s5, s11, s5
	v_mov_b32_e32 v3, v1
	v_lshl_add_u64 v[4:5], v[4:5], 3, s[4:5]
	s_mul_i32 s4, s13, s2
	s_mul_hi_u32 s5, s12, s2
	v_lshl_add_u64 v[2:3], v[2:3], 3, v[4:5]
	s_add_i32 s5, s5, s4
	s_mul_i32 s4, s12, s2
	v_cndmask_b32_e64 v4, 0, 1, s[0:1]
	s_mov_b32 s3, 0
	s_mov_b32 s16, s18
	;; [unrolled: 1-line block ×4, first 2 shown]
	v_lshl_add_u64 v[2:3], s[8:9], 0, v[2:3]
	s_lshl_b64 s[4:5], s[4:5], 3
	s_mov_b64 s[8:9], 0
	v_cmp_ne_u32_e64 s[0:1], 1, v4
	s_branch .LBB15_4
.LBB15_3:                               ;   in Loop: Header=BB15_4 Depth=1
	v_lshl_add_u64 v[0:1], v[0:1], 0, s[2:3]
	v_cmp_le_i64_e32 vcc, s[6:7], v[0:1]
	global_store_dwordx2 v[2:3], v[4:5], off
	s_or_b64 s[8:9], vcc, s[8:9]
	v_lshl_add_u64 v[2:3], v[2:3], 0, s[4:5]
	s_andn2_b64 exec, exec, s[8:9]
	s_cbranch_execz .LBB15_6
.LBB15_4:                               ; =>This Inner Loop Header: Depth=1
	v_mov_b32_e32 v4, 0
	s_and_b64 vcc, exec, s[0:1]
	v_mov_b32_e32 v5, 0
	s_cbranch_vccnz .LBB15_3
; %bb.5:                                ;   in Loop: Header=BB15_4 Depth=1
	global_load_dwordx2 v[6:7], v[2:3], off
	s_waitcnt vmcnt(0)
	v_pk_mul_f32 v[8:9], v[6:7], s[18:19] op_sel:[1,0] op_sel_hi:[0,1]
	v_pk_fma_f32 v[4:5], v[6:7], s[16:17], v[8:9] neg_lo:[0,0,1] neg_hi:[0,0,1]
	v_pk_fma_f32 v[6:7], v[6:7], s[16:17], v[8:9]
	s_nop 0
	v_mov_b32_e32 v5, v7
	s_branch .LBB15_3
.LBB15_6:
	s_endpgm
	.section	.rodata,"a",@progbits
	.p2align	6, 0x0
	.amdhsa_kernel _ZL25rocblas_symm_scale_kernelILi128ELi8E19rocblas_complex_numIfEPS1_EviiT1_T2_llli
		.amdhsa_group_segment_fixed_size 0
		.amdhsa_private_segment_fixed_size 0
		.amdhsa_kernarg_size 312
		.amdhsa_user_sgpr_count 2
		.amdhsa_user_sgpr_dispatch_ptr 0
		.amdhsa_user_sgpr_queue_ptr 0
		.amdhsa_user_sgpr_kernarg_segment_ptr 1
		.amdhsa_user_sgpr_dispatch_id 0
		.amdhsa_user_sgpr_kernarg_preload_length 0
		.amdhsa_user_sgpr_kernarg_preload_offset 0
		.amdhsa_user_sgpr_private_segment_size 0
		.amdhsa_uses_dynamic_stack 0
		.amdhsa_enable_private_segment 0
		.amdhsa_system_sgpr_workgroup_id_x 1
		.amdhsa_system_sgpr_workgroup_id_y 1
		.amdhsa_system_sgpr_workgroup_id_z 1
		.amdhsa_system_sgpr_workgroup_info 0
		.amdhsa_system_vgpr_workitem_id 1
		.amdhsa_next_free_vgpr 10
		.amdhsa_next_free_sgpr 20
		.amdhsa_accum_offset 12
		.amdhsa_reserve_vcc 1
		.amdhsa_float_round_mode_32 0
		.amdhsa_float_round_mode_16_64 0
		.amdhsa_float_denorm_mode_32 3
		.amdhsa_float_denorm_mode_16_64 3
		.amdhsa_dx10_clamp 1
		.amdhsa_ieee_mode 1
		.amdhsa_fp16_overflow 0
		.amdhsa_tg_split 0
		.amdhsa_exception_fp_ieee_invalid_op 0
		.amdhsa_exception_fp_denorm_src 0
		.amdhsa_exception_fp_ieee_div_zero 0
		.amdhsa_exception_fp_ieee_overflow 0
		.amdhsa_exception_fp_ieee_underflow 0
		.amdhsa_exception_fp_ieee_inexact 0
		.amdhsa_exception_int_div_zero 0
	.end_amdhsa_kernel
	.section	.text._ZL25rocblas_symm_scale_kernelILi128ELi8E19rocblas_complex_numIfEPS1_EviiT1_T2_llli,"axG",@progbits,_ZL25rocblas_symm_scale_kernelILi128ELi8E19rocblas_complex_numIfEPS1_EviiT1_T2_llli,comdat
.Lfunc_end15:
	.size	_ZL25rocblas_symm_scale_kernelILi128ELi8E19rocblas_complex_numIfEPS1_EviiT1_T2_llli, .Lfunc_end15-_ZL25rocblas_symm_scale_kernelILi128ELi8E19rocblas_complex_numIfEPS1_EviiT1_T2_llli
                                        ; -- End function
	.set _ZL25rocblas_symm_scale_kernelILi128ELi8E19rocblas_complex_numIfEPS1_EviiT1_T2_llli.num_vgpr, 10
	.set _ZL25rocblas_symm_scale_kernelILi128ELi8E19rocblas_complex_numIfEPS1_EviiT1_T2_llli.num_agpr, 0
	.set _ZL25rocblas_symm_scale_kernelILi128ELi8E19rocblas_complex_numIfEPS1_EviiT1_T2_llli.numbered_sgpr, 20
	.set _ZL25rocblas_symm_scale_kernelILi128ELi8E19rocblas_complex_numIfEPS1_EviiT1_T2_llli.num_named_barrier, 0
	.set _ZL25rocblas_symm_scale_kernelILi128ELi8E19rocblas_complex_numIfEPS1_EviiT1_T2_llli.private_seg_size, 0
	.set _ZL25rocblas_symm_scale_kernelILi128ELi8E19rocblas_complex_numIfEPS1_EviiT1_T2_llli.uses_vcc, 1
	.set _ZL25rocblas_symm_scale_kernelILi128ELi8E19rocblas_complex_numIfEPS1_EviiT1_T2_llli.uses_flat_scratch, 0
	.set _ZL25rocblas_symm_scale_kernelILi128ELi8E19rocblas_complex_numIfEPS1_EviiT1_T2_llli.has_dyn_sized_stack, 0
	.set _ZL25rocblas_symm_scale_kernelILi128ELi8E19rocblas_complex_numIfEPS1_EviiT1_T2_llli.has_recursion, 0
	.set _ZL25rocblas_symm_scale_kernelILi128ELi8E19rocblas_complex_numIfEPS1_EviiT1_T2_llli.has_indirect_call, 0
	.section	.AMDGPU.csdata,"",@progbits
; Kernel info:
; codeLenInByte = 400
; TotalNumSgprs: 26
; NumVgprs: 10
; NumAgprs: 0
; TotalNumVgprs: 10
; ScratchSize: 0
; MemoryBound: 0
; FloatMode: 240
; IeeeMode: 1
; LDSByteSize: 0 bytes/workgroup (compile time only)
; SGPRBlocks: 3
; VGPRBlocks: 1
; NumSGPRsForWavesPerEU: 26
; NumVGPRsForWavesPerEU: 10
; AccumOffset: 12
; Occupancy: 8
; WaveLimiterHint : 0
; COMPUTE_PGM_RSRC2:SCRATCH_EN: 0
; COMPUTE_PGM_RSRC2:USER_SGPR: 2
; COMPUTE_PGM_RSRC2:TRAP_HANDLER: 0
; COMPUTE_PGM_RSRC2:TGID_X_EN: 1
; COMPUTE_PGM_RSRC2:TGID_Y_EN: 1
; COMPUTE_PGM_RSRC2:TGID_Z_EN: 1
; COMPUTE_PGM_RSRC2:TIDIG_COMP_CNT: 1
; COMPUTE_PGM_RSRC3_GFX90A:ACCUM_OFFSET: 2
; COMPUTE_PGM_RSRC3_GFX90A:TG_SPLIT: 0
	.section	.text._ZL24rocblas_symm_hemm_kernelILb0ELb0ELi32E19rocblas_complex_numIfEPKS1_PS1_EvbiiT2_T3_lllS6_lllT4_llli,"axG",@progbits,_ZL24rocblas_symm_hemm_kernelILb0ELb0ELi32E19rocblas_complex_numIfEPKS1_PS1_EvbiiT2_T3_lllS6_lllT4_llli,comdat
	.globl	_ZL24rocblas_symm_hemm_kernelILb0ELb0ELi32E19rocblas_complex_numIfEPKS1_PS1_EvbiiT2_T3_lllS6_lllT4_llli ; -- Begin function _ZL24rocblas_symm_hemm_kernelILb0ELb0ELi32E19rocblas_complex_numIfEPKS1_PS1_EvbiiT2_T3_lllS6_lllT4_llli
	.p2align	8
	.type	_ZL24rocblas_symm_hemm_kernelILb0ELb0ELi32E19rocblas_complex_numIfEPKS1_PS1_EvbiiT2_T3_lllS6_lllT4_llli,@function
_ZL24rocblas_symm_hemm_kernelILb0ELb0ELi32E19rocblas_complex_numIfEPKS1_PS1_EvbiiT2_T3_lllS6_lllT4_llli: ; @_ZL24rocblas_symm_hemm_kernelILb0ELb0ELi32E19rocblas_complex_numIfEPKS1_PS1_EvbiiT2_T3_lllS6_lllT4_llli
; %bb.0:
	s_load_dwordx4 s[36:39], s[0:1], 0x0
	s_load_dword s35, s[0:1], 0x10
	s_waitcnt lgkmcnt(0)
	v_cmp_eq_f32_e64 s[6:7], s39, 0
	v_cmp_eq_f32_e64 s[8:9], s35, 0
	s_and_b64 s[6:7], s[6:7], s[8:9]
	s_and_b64 vcc, exec, s[6:7]
	s_cbranch_vccnz .LBB16_13
; %bb.1:
	s_add_i32 s5, s38, -1
	s_ashr_i32 s6, s5, 31
	s_lshr_b32 s6, s6, 27
	s_add_i32 s5, s5, s6
	s_ashr_i32 s33, s5, 5
	s_cmp_gt_i32 s3, s33
	s_cbranch_scc1 .LBB16_13
; %bb.2:
	s_load_dwordx16 s[8:23], s[0:1], 0x18
	s_load_dwordx8 s[24:31], s[0:1], 0x58
	v_and_b32_e32 v16, 0x3ff, v0
	v_lshl_add_u32 v8, s2, 5, v16
	s_load_dword s2, s[0:1], 0x84
	s_waitcnt lgkmcnt(0)
	s_mul_i32 s5, s15, s4
	s_mul_hi_u32 s7, s14, s4
	s_mul_i32 s6, s14, s4
	s_add_i32 s7, s7, s5
	s_lshl_b64 s[6:7], s[6:7], 3
	s_add_u32 s5, s8, s6
	s_addc_u32 s8, s9, s7
	s_lshl_b64 s[6:7], s[10:11], 3
	s_add_u32 s10, s5, s6
	s_mul_i32 s5, s23, s4
	s_mul_hi_u32 s6, s22, s4
	s_addc_u32 s11, s8, s7
	s_add_i32 s7, s6, s5
	s_mul_i32 s6, s22, s4
	s_lshl_b64 s[6:7], s[6:7], 3
	s_add_u32 s5, s16, s6
	s_addc_u32 s8, s17, s7
	s_lshl_b64 s[6:7], s[18:19], 3
	s_add_u32 s14, s5, s6
	s_addc_u32 s15, s8, s7
	s_bitcmp1_b32 s36, 0
	s_mul_i32 s5, s31, s4
	s_mul_hi_u32 s8, s30, s4
	s_cselect_b64 s[6:7], -1, 0
	s_add_i32 s5, s8, s5
	s_mul_i32 s4, s30, s4
	s_lshl_b64 s[4:5], s[4:5], 3
	s_add_u32 s8, s24, s4
	s_addc_u32 s9, s25, s5
	s_lshl_b64 s[4:5], s[26:27], 3
	s_add_u32 s4, s8, s4
	s_addc_u32 s5, s9, s5
	v_bfe_u32 v17, v0, 10, 10
	s_cmp_gt_i32 s37, 0
	v_lshlrev_b32_e32 v18, 8, v16
	v_lshlrev_b32_e32 v0, 3, v17
	s_cselect_b64 s[0:1], -1, 0
	v_add_u32_e32 v19, v18, v0
	v_or_b32_e32 v20, 0x2000, v0
	v_ashrrev_i32_e32 v9, 31, v8
	v_cndmask_b32_e64 v0, 0, 1, s[0:1]
	s_mov_b32 s34, s39
	v_add_u32_e32 v21, v20, v18
	v_cmp_gt_i32_e64 s[8:9], s37, v8
	v_lshl_add_u64 v[10:11], v[8:9], 3, s[4:5]
	s_mov_b32 s16, s35
	s_mov_b32 s17, s39
	v_cmp_ne_u32_e64 s[4:5], 1, v0
	v_add_u32_e32 v9, 0x800, v20
	v_add_u32_e32 v22, 0x1000, v20
	;; [unrolled: 1-line block ×3, first 2 shown]
	s_branch .LBB16_4
.LBB16_3:                               ;   in Loop: Header=BB16_4 Depth=1
	s_add_i32 s3, s3, s2
	s_cmp_gt_i32 s3, s33
	s_cbranch_scc1 .LBB16_13
.LBB16_4:                               ; =>This Loop Header: Depth=1
                                        ;     Child Loop BB16_7 Depth 2
	s_and_b64 vcc, exec, s[4:5]
	s_cbranch_vccnz .LBB16_3
; %bb.5:                                ;   in Loop: Header=BB16_4 Depth=1
	v_lshl_add_u32 v2, s3, 5, v17
	v_ashrrev_i32_e32 v3, 31, v2
	v_mul_lo_u32 v4, s20, v3
	v_mul_lo_u32 v5, s21, v2
	v_mad_u64_u32 v[0:1], s[0:1], s20, v2, 0
	v_add3_u32 v1, v1, v4, v5
	v_lshl_add_u64 v[12:13], v[0:1], 3, s[14:15]
	v_mul_lo_u32 v3, s28, v3
	v_mul_lo_u32 v4, s29, v2
	v_mad_u64_u32 v[0:1], s[0:1], s28, v2, 0
	v_cmp_gt_i32_e32 vcc, s38, v2
	v_add3_u32 v1, v1, v3, v4
	s_and_b64 s[18:19], s[8:9], vcc
	v_lshl_add_u64 v[14:15], v[0:1], 3, v[10:11]
	s_mov_b32 s24, 0
	s_branch .LBB16_7
.LBB16_6:                               ;   in Loop: Header=BB16_7 Depth=2
	s_or_b64 exec, exec, s[0:1]
	s_add_i32 s24, s24, 32
	s_cmp_ge_i32 s24, s37
	s_barrier
	s_cbranch_scc1 .LBB16_3
.LBB16_7:                               ;   Parent Loop BB16_4 Depth=1
                                        ; =>  This Inner Loop Header: Depth=2
	v_add_u32_e32 v0, s24, v17
	v_cndmask_b32_e64 v1, v0, v8, s[6:7]
	v_cndmask_b32_e64 v2, v8, v0, s[6:7]
	v_cmp_gt_i32_e64 s[0:1], v1, v2
	v_mov_b32_e32 v4, 0
	v_mov_b32_e32 v5, 0
	v_cndmask_b32_e64 v2, v8, v0, s[0:1]
	v_cndmask_b32_e64 v1, v0, v8, s[0:1]
	v_max_i32_e32 v0, v2, v1
	v_cmp_gt_i32_e64 s[0:1], s37, v0
	v_mov_b32_e32 v0, 0
	s_and_saveexec_b64 s[22:23], s[0:1]
	s_cbranch_execz .LBB16_9
; %bb.8:                                ;   in Loop: Header=BB16_7 Depth=2
	v_ashrrev_i32_e32 v3, 31, v1
	v_mul_lo_u32 v6, s13, v1
	v_mul_lo_u32 v3, s12, v3
	v_mad_u64_u32 v[4:5], s[0:1], s12, v1, 0
	v_add3_u32 v5, v5, v3, v6
	v_ashrrev_i32_e32 v3, 31, v2
	v_lshl_add_u64 v[4:5], v[4:5], 3, s[10:11]
	v_lshl_add_u64 v[2:3], v[2:3], 3, v[4:5]
	global_load_dwordx2 v[4:5], v[2:3], off
.LBB16_9:                               ;   in Loop: Header=BB16_7 Depth=2
	s_or_b64 exec, exec, s[22:23]
	v_add_u32_e32 v2, s24, v16
	v_cmp_gt_i32_e64 s[0:1], s37, v2
	s_and_b64 s[22:23], s[0:1], vcc
	v_mov_b32_e32 v1, 0
	s_waitcnt vmcnt(0)
	ds_write_b64 v19, v[4:5]
	s_and_saveexec_b64 s[0:1], s[22:23]
	s_cbranch_execz .LBB16_11
; %bb.10:                               ;   in Loop: Header=BB16_7 Depth=2
	v_ashrrev_i32_e32 v3, 31, v2
	v_lshl_add_u64 v[0:1], v[2:3], 3, v[12:13]
	global_load_dwordx2 v[0:1], v[0:1], off
.LBB16_11:                              ;   in Loop: Header=BB16_7 Depth=2
	s_or_b64 exec, exec, s[0:1]
	s_waitcnt vmcnt(0)
	ds_write_b64 v21, v[0:1]
	s_waitcnt lgkmcnt(0)
	s_barrier
	s_and_saveexec_b64 s[0:1], s[18:19]
	s_cbranch_execz .LBB16_6
; %bb.12:                               ;   in Loop: Header=BB16_7 Depth=2
	ds_read2_b64 v[0:3], v20 offset1:32
	ds_read_b128 v[4:7], v18
	ds_read_b128 v[24:27], v18 offset:16
	ds_read_b128 v[28:31], v18 offset:32
	;; [unrolled: 1-line block ×3, first 2 shown]
	s_waitcnt lgkmcnt(3)
	v_mul_f32_e32 v36, v1, v5
	v_fma_f32 v36, v0, v4, -v36
	v_mul_f32_e32 v0, v0, v5
	v_fmac_f32_e32 v0, v1, v4
	v_add_f32_e32 v1, 0, v36
	ds_read2_b64 v[36:39], v20 offset0:64 offset1:96
	v_mul_f32_e32 v4, v3, v7
	v_fma_f32 v4, v2, v6, -v4
	v_mul_f32_e32 v2, v2, v7
	v_add_f32_e32 v0, 0, v0
	v_fmac_f32_e32 v2, v3, v6
	s_waitcnt lgkmcnt(0)
	v_mul_f32_e32 v3, v36, v25
	v_add_f32_e32 v0, v0, v2
	v_mul_f32_e32 v2, v37, v25
	v_fmac_f32_e32 v3, v37, v24
	v_add_f32_e32 v1, v1, v4
	v_fma_f32 v2, v36, v24, -v2
	v_add_f32_e32 v5, v0, v3
	v_mul_f32_e32 v0, v39, v27
	v_add_f32_e32 v4, v1, v2
	v_fma_f32 v6, v38, v26, -v0
	ds_read2_b64 v[0:3], v20 offset0:128 offset1:160
	v_mul_f32_e32 v7, v38, v27
	v_add_f32_e32 v4, v4, v6
	v_fmac_f32_e32 v7, v39, v26
	v_add_f32_e32 v5, v5, v7
	s_waitcnt lgkmcnt(0)
	v_mul_f32_e32 v6, v1, v29
	v_fma_f32 v6, v0, v28, -v6
	v_mul_f32_e32 v0, v0, v29
	v_fmac_f32_e32 v0, v1, v28
	v_add_f32_e32 v1, v4, v6
	v_mul_f32_e32 v4, v3, v31
	v_add_f32_e32 v0, v5, v0
	v_fma_f32 v24, v2, v30, -v4
	ds_read2_b64 v[4:7], v20 offset0:192 offset1:224
	v_mul_f32_e32 v2, v2, v31
	v_fmac_f32_e32 v2, v3, v30
	v_add_f32_e32 v0, v0, v2
	v_add_f32_e32 v1, v1, v24
	s_waitcnt lgkmcnt(0)
	v_mul_f32_e32 v3, v4, v33
	v_mul_f32_e32 v2, v5, v33
	v_fmac_f32_e32 v3, v5, v32
	v_fma_f32 v2, v4, v32, -v2
	v_add_f32_e32 v5, v0, v3
	v_mul_f32_e32 v0, v7, v35
	v_add_f32_e32 v4, v1, v2
	v_fma_f32 v28, v6, v34, -v0
	ds_read_b128 v[0:3], v18 offset:64
	ds_read2_b64 v[24:27], v9 offset1:32
	v_mul_f32_e32 v6, v6, v35
	v_fmac_f32_e32 v6, v7, v34
	v_add_f32_e32 v28, v4, v28
	v_add_f32_e32 v29, v5, v6
	s_waitcnt lgkmcnt(0)
	v_mul_f32_e32 v30, v25, v1
	v_mul_f32_e32 v1, v24, v1
	v_fma_f32 v30, v24, v0, -v30
	v_fmac_f32_e32 v1, v25, v0
	ds_read_b128 v[4:7], v18 offset:80
	v_add_f32_e32 v0, v28, v30
	v_add_f32_e32 v1, v29, v1
	ds_read2_b64 v[28:31], v9 offset0:64 offset1:96
	v_mul_f32_e32 v24, v27, v3
	v_mul_f32_e32 v3, v26, v3
	v_fma_f32 v24, v26, v2, -v24
	v_fmac_f32_e32 v3, v27, v2
	s_waitcnt lgkmcnt(0)
	v_mul_f32_e32 v2, v29, v5
	v_add_f32_e32 v0, v0, v24
	v_add_f32_e32 v1, v1, v3
	v_fma_f32 v2, v28, v4, -v2
	v_mul_f32_e32 v3, v28, v5
	v_fmac_f32_e32 v3, v29, v4
	v_add_f32_e32 v4, v0, v2
	v_mul_f32_e32 v0, v31, v7
	v_add_f32_e32 v5, v1, v3
	v_fma_f32 v28, v30, v6, -v0
	ds_read_b128 v[0:3], v18 offset:96
	ds_read2_b64 v[24:27], v9 offset0:128 offset1:160
	v_mul_f32_e32 v7, v30, v7
	v_fmac_f32_e32 v7, v31, v6
	v_add_f32_e32 v28, v4, v28
	v_add_f32_e32 v29, v5, v7
	s_waitcnt lgkmcnt(0)
	v_mul_f32_e32 v30, v25, v1
	v_mul_f32_e32 v1, v24, v1
	v_fma_f32 v30, v24, v0, -v30
	v_fmac_f32_e32 v1, v25, v0
	ds_read_b128 v[4:7], v18 offset:112
	v_add_f32_e32 v0, v28, v30
	v_add_f32_e32 v1, v29, v1
	ds_read2_b64 v[28:31], v9 offset0:192 offset1:224
	v_mul_f32_e32 v24, v27, v3
	v_mul_f32_e32 v3, v26, v3
	v_fma_f32 v24, v26, v2, -v24
	v_fmac_f32_e32 v3, v27, v2
	s_waitcnt lgkmcnt(0)
	v_mul_f32_e32 v2, v29, v5
	v_add_f32_e32 v0, v0, v24
	v_add_f32_e32 v1, v1, v3
	v_fma_f32 v2, v28, v4, -v2
	v_mul_f32_e32 v3, v28, v5
	v_fmac_f32_e32 v3, v29, v4
	v_add_f32_e32 v4, v0, v2
	v_mul_f32_e32 v0, v31, v7
	v_add_f32_e32 v5, v1, v3
	v_fma_f32 v28, v30, v6, -v0
	ds_read_b128 v[0:3], v18 offset:128
	ds_read2_b64 v[24:27], v22 offset1:32
	v_mul_f32_e32 v7, v30, v7
	v_fmac_f32_e32 v7, v31, v6
	v_add_f32_e32 v4, v4, v28
	ds_read_b128 v[28:31], v18 offset:144
	ds_read2_b64 v[32:35], v22 offset0:64 offset1:96
	s_waitcnt lgkmcnt(2)
	v_mul_f32_e32 v6, v25, v1
	v_fma_f32 v6, v24, v0, -v6
	v_mul_f32_e32 v1, v24, v1
	v_add_f32_e32 v5, v5, v7
	v_fmac_f32_e32 v1, v25, v0
	v_add_f32_e32 v0, v4, v6
	v_mul_f32_e32 v4, v27, v3
	v_mul_f32_e32 v3, v26, v3
	v_add_f32_e32 v1, v5, v1
	v_fma_f32 v4, v26, v2, -v4
	v_fmac_f32_e32 v3, v27, v2
	s_waitcnt lgkmcnt(0)
	v_mul_f32_e32 v2, v33, v29
	v_add_f32_e32 v0, v0, v4
	v_add_f32_e32 v1, v1, v3
	v_fma_f32 v2, v32, v28, -v2
	v_mul_f32_e32 v3, v32, v29
	v_fmac_f32_e32 v3, v33, v28
	v_add_f32_e32 v24, v0, v2
	v_mul_f32_e32 v0, v35, v31
	v_add_f32_e32 v25, v1, v3
	v_fma_f32 v26, v34, v30, -v0
	ds_read_b128 v[0:3], v18 offset:160
	ds_read2_b64 v[4:7], v22 offset0:128 offset1:160
	global_load_dwordx2 v[32:33], v[14:15], off
	v_mul_f32_e32 v27, v34, v31
	v_fmac_f32_e32 v27, v35, v30
	v_add_f32_e32 v28, v24, v26
	s_waitcnt lgkmcnt(0)
	v_mul_f32_e32 v30, v5, v1
	v_mul_f32_e32 v1, v4, v1
	v_add_f32_e32 v29, v25, v27
	v_fma_f32 v30, v4, v0, -v30
	v_fmac_f32_e32 v1, v5, v0
	ds_read_b128 v[24:27], v18 offset:176
	v_add_f32_e32 v0, v28, v30
	v_add_f32_e32 v1, v29, v1
	ds_read2_b64 v[28:31], v22 offset0:192 offset1:224
	v_mul_f32_e32 v4, v7, v3
	v_mul_f32_e32 v3, v6, v3
	v_fma_f32 v4, v6, v2, -v4
	v_fmac_f32_e32 v3, v7, v2
	s_waitcnt lgkmcnt(0)
	v_mul_f32_e32 v2, v29, v25
	v_add_f32_e32 v0, v0, v4
	v_add_f32_e32 v1, v1, v3
	v_fma_f32 v2, v28, v24, -v2
	v_mul_f32_e32 v3, v28, v25
	v_fmac_f32_e32 v3, v29, v24
	v_add_f32_e32 v24, v0, v2
	v_mul_f32_e32 v0, v31, v27
	v_add_f32_e32 v25, v1, v3
	v_fma_f32 v28, v30, v26, -v0
	ds_read_b128 v[0:3], v18 offset:192
	ds_read2_b64 v[4:7], v23 offset1:32
	v_mul_f32_e32 v27, v30, v27
	v_fmac_f32_e32 v27, v31, v26
	v_add_f32_e32 v28, v24, v28
	v_add_f32_e32 v29, v25, v27
	s_waitcnt lgkmcnt(0)
	v_mul_f32_e32 v30, v5, v1
	v_mul_f32_e32 v1, v4, v1
	v_fma_f32 v30, v4, v0, -v30
	v_fmac_f32_e32 v1, v5, v0
	ds_read_b128 v[24:27], v18 offset:208
	v_add_f32_e32 v0, v28, v30
	v_add_f32_e32 v1, v29, v1
	ds_read2_b64 v[28:31], v23 offset0:64 offset1:96
	v_mul_f32_e32 v4, v7, v3
	v_mul_f32_e32 v3, v6, v3
	v_fma_f32 v4, v6, v2, -v4
	v_fmac_f32_e32 v3, v7, v2
	s_waitcnt lgkmcnt(0)
	v_mul_f32_e32 v2, v29, v25
	v_add_f32_e32 v0, v0, v4
	v_add_f32_e32 v1, v1, v3
	v_fma_f32 v2, v28, v24, -v2
	v_mul_f32_e32 v3, v28, v25
	v_fmac_f32_e32 v3, v29, v24
	v_add_f32_e32 v24, v0, v2
	v_mul_f32_e32 v0, v31, v27
	v_add_f32_e32 v25, v1, v3
	v_fma_f32 v28, v30, v26, -v0
	ds_read_b128 v[0:3], v18 offset:224
	ds_read2_b64 v[4:7], v23 offset0:128 offset1:160
	v_mul_f32_e32 v27, v30, v27
	v_fmac_f32_e32 v27, v31, v26
	v_add_f32_e32 v28, v24, v28
	v_add_f32_e32 v29, v25, v27
	s_waitcnt lgkmcnt(0)
	v_mul_f32_e32 v30, v5, v1
	v_mul_f32_e32 v1, v4, v1
	v_fma_f32 v30, v4, v0, -v30
	v_fmac_f32_e32 v1, v5, v0
	ds_read_b128 v[24:27], v18 offset:240
	v_add_f32_e32 v0, v28, v30
	v_add_f32_e32 v1, v29, v1
	ds_read2_b64 v[28:31], v23 offset0:192 offset1:224
	v_mul_f32_e32 v4, v7, v3
	v_mul_f32_e32 v3, v6, v3
	v_fmac_f32_e32 v3, v7, v2
	v_fma_f32 v4, v6, v2, -v4
	v_add_f32_e32 v1, v1, v3
	s_waitcnt lgkmcnt(0)
	v_mul_f32_e32 v2, v29, v25
	v_mul_f32_e32 v3, v28, v25
	v_add_f32_e32 v0, v0, v4
	v_fma_f32 v2, v28, v24, -v2
	v_fmac_f32_e32 v3, v29, v24
	v_add_f32_e32 v0, v0, v2
	v_add_f32_e32 v1, v1, v3
	v_mul_f32_e32 v2, v31, v27
	v_mul_f32_e32 v3, v30, v27
	v_fma_f32 v2, v30, v26, -v2
	v_fmac_f32_e32 v3, v31, v26
	v_add_f32_e32 v0, v0, v2
	v_add_f32_e32 v2, v1, v3
	v_pk_mul_f32 v[2:3], s[16:17], v[2:3] op_sel_hi:[1,0]
	s_nop 0
	v_pk_fma_f32 v[4:5], s[34:35], v[0:1], v[2:3] neg_lo:[0,0,1] neg_hi:[0,0,1]
	v_pk_fma_f32 v[0:1], s[34:35], v[0:1], v[2:3] op_sel_hi:[1,0,1]
	s_nop 0
	v_mov_b32_e32 v5, v1
	s_waitcnt vmcnt(0)
	v_pk_add_f32 v[0:1], v[32:33], v[4:5]
	global_store_dwordx2 v[14:15], v[0:1], off
	s_branch .LBB16_6
.LBB16_13:
	s_endpgm
	.section	.rodata,"a",@progbits
	.p2align	6, 0x0
	.amdhsa_kernel _ZL24rocblas_symm_hemm_kernelILb0ELb0ELi32E19rocblas_complex_numIfEPKS1_PS1_EvbiiT2_T3_lllS6_lllT4_llli
		.amdhsa_group_segment_fixed_size 16384
		.amdhsa_private_segment_fixed_size 0
		.amdhsa_kernarg_size 384
		.amdhsa_user_sgpr_count 2
		.amdhsa_user_sgpr_dispatch_ptr 0
		.amdhsa_user_sgpr_queue_ptr 0
		.amdhsa_user_sgpr_kernarg_segment_ptr 1
		.amdhsa_user_sgpr_dispatch_id 0
		.amdhsa_user_sgpr_kernarg_preload_length 0
		.amdhsa_user_sgpr_kernarg_preload_offset 0
		.amdhsa_user_sgpr_private_segment_size 0
		.amdhsa_uses_dynamic_stack 0
		.amdhsa_enable_private_segment 0
		.amdhsa_system_sgpr_workgroup_id_x 1
		.amdhsa_system_sgpr_workgroup_id_y 1
		.amdhsa_system_sgpr_workgroup_id_z 1
		.amdhsa_system_sgpr_workgroup_info 0
		.amdhsa_system_vgpr_workitem_id 1
		.amdhsa_next_free_vgpr 40
		.amdhsa_next_free_sgpr 40
		.amdhsa_accum_offset 40
		.amdhsa_reserve_vcc 1
		.amdhsa_float_round_mode_32 0
		.amdhsa_float_round_mode_16_64 0
		.amdhsa_float_denorm_mode_32 3
		.amdhsa_float_denorm_mode_16_64 3
		.amdhsa_dx10_clamp 1
		.amdhsa_ieee_mode 1
		.amdhsa_fp16_overflow 0
		.amdhsa_tg_split 0
		.amdhsa_exception_fp_ieee_invalid_op 0
		.amdhsa_exception_fp_denorm_src 0
		.amdhsa_exception_fp_ieee_div_zero 0
		.amdhsa_exception_fp_ieee_overflow 0
		.amdhsa_exception_fp_ieee_underflow 0
		.amdhsa_exception_fp_ieee_inexact 0
		.amdhsa_exception_int_div_zero 0
	.end_amdhsa_kernel
	.section	.text._ZL24rocblas_symm_hemm_kernelILb0ELb0ELi32E19rocblas_complex_numIfEPKS1_PS1_EvbiiT2_T3_lllS6_lllT4_llli,"axG",@progbits,_ZL24rocblas_symm_hemm_kernelILb0ELb0ELi32E19rocblas_complex_numIfEPKS1_PS1_EvbiiT2_T3_lllS6_lllT4_llli,comdat
.Lfunc_end16:
	.size	_ZL24rocblas_symm_hemm_kernelILb0ELb0ELi32E19rocblas_complex_numIfEPKS1_PS1_EvbiiT2_T3_lllS6_lllT4_llli, .Lfunc_end16-_ZL24rocblas_symm_hemm_kernelILb0ELb0ELi32E19rocblas_complex_numIfEPKS1_PS1_EvbiiT2_T3_lllS6_lllT4_llli
                                        ; -- End function
	.set _ZL24rocblas_symm_hemm_kernelILb0ELb0ELi32E19rocblas_complex_numIfEPKS1_PS1_EvbiiT2_T3_lllS6_lllT4_llli.num_vgpr, 40
	.set _ZL24rocblas_symm_hemm_kernelILb0ELb0ELi32E19rocblas_complex_numIfEPKS1_PS1_EvbiiT2_T3_lllS6_lllT4_llli.num_agpr, 0
	.set _ZL24rocblas_symm_hemm_kernelILb0ELb0ELi32E19rocblas_complex_numIfEPKS1_PS1_EvbiiT2_T3_lllS6_lllT4_llli.numbered_sgpr, 40
	.set _ZL24rocblas_symm_hemm_kernelILb0ELb0ELi32E19rocblas_complex_numIfEPKS1_PS1_EvbiiT2_T3_lllS6_lllT4_llli.num_named_barrier, 0
	.set _ZL24rocblas_symm_hemm_kernelILb0ELb0ELi32E19rocblas_complex_numIfEPKS1_PS1_EvbiiT2_T3_lllS6_lllT4_llli.private_seg_size, 0
	.set _ZL24rocblas_symm_hemm_kernelILb0ELb0ELi32E19rocblas_complex_numIfEPKS1_PS1_EvbiiT2_T3_lllS6_lllT4_llli.uses_vcc, 1
	.set _ZL24rocblas_symm_hemm_kernelILb0ELb0ELi32E19rocblas_complex_numIfEPKS1_PS1_EvbiiT2_T3_lllS6_lllT4_llli.uses_flat_scratch, 0
	.set _ZL24rocblas_symm_hemm_kernelILb0ELb0ELi32E19rocblas_complex_numIfEPKS1_PS1_EvbiiT2_T3_lllS6_lllT4_llli.has_dyn_sized_stack, 0
	.set _ZL24rocblas_symm_hemm_kernelILb0ELb0ELi32E19rocblas_complex_numIfEPKS1_PS1_EvbiiT2_T3_lllS6_lllT4_llli.has_recursion, 0
	.set _ZL24rocblas_symm_hemm_kernelILb0ELb0ELi32E19rocblas_complex_numIfEPKS1_PS1_EvbiiT2_T3_lllS6_lllT4_llli.has_indirect_call, 0
	.section	.AMDGPU.csdata,"",@progbits
; Kernel info:
; codeLenInByte = 2036
; TotalNumSgprs: 46
; NumVgprs: 40
; NumAgprs: 0
; TotalNumVgprs: 40
; ScratchSize: 0
; MemoryBound: 0
; FloatMode: 240
; IeeeMode: 1
; LDSByteSize: 16384 bytes/workgroup (compile time only)
; SGPRBlocks: 5
; VGPRBlocks: 4
; NumSGPRsForWavesPerEU: 46
; NumVGPRsForWavesPerEU: 40
; AccumOffset: 40
; Occupancy: 8
; WaveLimiterHint : 0
; COMPUTE_PGM_RSRC2:SCRATCH_EN: 0
; COMPUTE_PGM_RSRC2:USER_SGPR: 2
; COMPUTE_PGM_RSRC2:TRAP_HANDLER: 0
; COMPUTE_PGM_RSRC2:TGID_X_EN: 1
; COMPUTE_PGM_RSRC2:TGID_Y_EN: 1
; COMPUTE_PGM_RSRC2:TGID_Z_EN: 1
; COMPUTE_PGM_RSRC2:TIDIG_COMP_CNT: 1
; COMPUTE_PGM_RSRC3_GFX90A:ACCUM_OFFSET: 9
; COMPUTE_PGM_RSRC3_GFX90A:TG_SPLIT: 0
	.section	.text._ZL24rocblas_symm_hemm_kernelILb0ELb1ELi32E19rocblas_complex_numIfEPKS1_PS1_EvbiiT2_T3_lllS6_lllT4_llli,"axG",@progbits,_ZL24rocblas_symm_hemm_kernelILb0ELb1ELi32E19rocblas_complex_numIfEPKS1_PS1_EvbiiT2_T3_lllS6_lllT4_llli,comdat
	.globl	_ZL24rocblas_symm_hemm_kernelILb0ELb1ELi32E19rocblas_complex_numIfEPKS1_PS1_EvbiiT2_T3_lllS6_lllT4_llli ; -- Begin function _ZL24rocblas_symm_hemm_kernelILb0ELb1ELi32E19rocblas_complex_numIfEPKS1_PS1_EvbiiT2_T3_lllS6_lllT4_llli
	.p2align	8
	.type	_ZL24rocblas_symm_hemm_kernelILb0ELb1ELi32E19rocblas_complex_numIfEPKS1_PS1_EvbiiT2_T3_lllS6_lllT4_llli,@function
_ZL24rocblas_symm_hemm_kernelILb0ELb1ELi32E19rocblas_complex_numIfEPKS1_PS1_EvbiiT2_T3_lllS6_lllT4_llli: ; @_ZL24rocblas_symm_hemm_kernelILb0ELb1ELi32E19rocblas_complex_numIfEPKS1_PS1_EvbiiT2_T3_lllS6_lllT4_llli
; %bb.0:
	s_load_dwordx4 s[36:39], s[0:1], 0x0
	s_load_dword s35, s[0:1], 0x10
	s_waitcnt lgkmcnt(0)
	v_cmp_eq_f32_e64 s[6:7], s39, 0
	v_cmp_eq_f32_e64 s[8:9], s35, 0
	s_and_b64 s[6:7], s[6:7], s[8:9]
	s_and_b64 vcc, exec, s[6:7]
	s_cbranch_vccnz .LBB17_13
; %bb.1:
	s_add_i32 s5, s38, -1
	s_ashr_i32 s6, s5, 31
	s_lshr_b32 s6, s6, 27
	s_add_i32 s5, s5, s6
	s_ashr_i32 s33, s5, 5
	s_cmp_gt_i32 s3, s33
	s_cbranch_scc1 .LBB17_13
; %bb.2:
	s_load_dwordx16 s[8:23], s[0:1], 0x18
	s_load_dwordx8 s[24:31], s[0:1], 0x58
	v_and_b32_e32 v14, 0x3ff, v0
	v_lshl_add_u32 v2, s2, 5, v14
	v_ashrrev_i32_e32 v3, 31, v2
	s_waitcnt lgkmcnt(0)
	s_mul_i32 s5, s15, s4
	s_mul_hi_u32 s7, s14, s4
	s_mul_i32 s6, s14, s4
	s_add_i32 s7, s7, s5
	s_lshl_b64 s[6:7], s[6:7], 3
	s_add_u32 s5, s8, s6
	s_addc_u32 s8, s9, s7
	s_lshl_b64 s[6:7], s[10:11], 3
	s_add_u32 s10, s5, s6
	s_addc_u32 s11, s8, s7
	s_bitcmp1_b32 s36, 0
	s_mul_i32 s5, s31, s4
	s_mul_hi_u32 s8, s30, s4
	s_cselect_b64 s[6:7], -1, 0
	s_add_i32 s9, s8, s5
	s_mul_i32 s8, s30, s4
	s_lshl_b64 s[8:9], s[8:9], 3
	s_add_u32 s5, s24, s8
	s_addc_u32 s15, s25, s9
	s_lshl_b64 s[8:9], s[26:27], 3
	s_add_u32 s14, s5, s8
	s_mul_i32 s5, s23, s4
	s_mul_hi_u32 s8, s22, s4
	s_addc_u32 s15, s15, s9
	s_add_i32 s5, s8, s5
	s_mul_i32 s4, s22, s4
	s_lshl_b64 s[4:5], s[4:5], 3
	s_add_u32 s8, s16, s4
	s_addc_u32 s9, s17, s5
	s_lshl_b64 s[4:5], s[18:19], 3
	s_add_u32 s4, s8, s4
	s_addc_u32 s5, s9, s5
	s_load_dword s2, s[0:1], 0x84
	v_bfe_u32 v15, v0, 10, 10
	s_cmp_gt_i32 s38, 0
	v_lshlrev_b64 v[0:1], 3, v[2:3]
	v_cmp_gt_i32_e64 s[8:9], s37, v2
	v_lshl_add_u64 v[8:9], s[4:5], 0, v[0:1]
	v_lshlrev_b32_e32 v2, 3, v15
	s_cselect_b64 s[4:5], -1, 0
	v_lshlrev_b32_e32 v16, 8, v14
	v_or_b32_e32 v18, 0x2000, v2
	v_lshl_add_u64 v[10:11], s[14:15], 0, v[0:1]
	v_cndmask_b32_e64 v0, 0, 1, s[4:5]
	s_mov_b32 s34, s39
	v_add_u32_e32 v17, v16, v2
	v_add_u32_e32 v19, v18, v16
	s_mov_b32 s0, s35
	s_mov_b32 s1, s39
	v_cmp_ne_u32_e64 s[4:5], 1, v0
	v_add_u32_e32 v20, 0x800, v18
	v_add_u32_e32 v21, 0x1000, v18
	;; [unrolled: 1-line block ×3, first 2 shown]
	s_branch .LBB17_4
.LBB17_3:                               ;   in Loop: Header=BB17_4 Depth=1
	s_waitcnt lgkmcnt(0)
	s_add_i32 s3, s3, s2
	s_cmp_gt_i32 s3, s33
	s_cbranch_scc1 .LBB17_13
.LBB17_4:                               ; =>This Loop Header: Depth=1
                                        ;     Child Loop BB17_7 Depth 2
	s_and_b64 vcc, exec, s[4:5]
	s_cbranch_vccnz .LBB17_3
; %bb.5:                                ;   in Loop: Header=BB17_4 Depth=1
	v_lshl_add_u32 v23, s3, 5, v15
	v_ashrrev_i32_e32 v0, 31, v23
	v_mul_lo_u32 v2, s28, v0
	v_mul_lo_u32 v3, s29, v23
	v_mad_u64_u32 v[0:1], s[16:17], s28, v23, 0
	v_cmp_gt_i32_e32 vcc, s38, v23
	v_add3_u32 v1, v1, v2, v3
	s_and_b64 s[14:15], s[8:9], vcc
	v_lshl_add_u64 v[12:13], v[0:1], 3, v[10:11]
	s_mov_b32 s18, 0
	s_branch .LBB17_7
.LBB17_6:                               ;   in Loop: Header=BB17_7 Depth=2
	s_or_b64 exec, exec, s[16:17]
	s_add_i32 s18, s18, 32
	s_cmp_ge_i32 s18, s38
	s_barrier
	s_cbranch_scc1 .LBB17_3
.LBB17_7:                               ;   Parent Loop BB17_4 Depth=1
                                        ; =>  This Inner Loop Header: Depth=2
	v_add_u32_e32 v1, s18, v15
	v_cmp_gt_i32_e32 vcc, s38, v1
	s_and_b64 s[22:23], s[8:9], vcc
	v_mov_b32_e32 v0, 0
	v_mov_b32_e32 v2, 0
	v_mov_b32_e32 v3, 0
	s_and_saveexec_b64 s[16:17], s[22:23]
	s_cbranch_execz .LBB17_9
; %bb.8:                                ;   in Loop: Header=BB17_7 Depth=2
	v_ashrrev_i32_e32 v2, 31, v1
	v_mul_lo_u32 v4, s21, v1
	v_mul_lo_u32 v5, s20, v2
	v_mad_u64_u32 v[2:3], s[22:23], s20, v1, 0
	v_add3_u32 v3, v3, v5, v4
	v_lshl_add_u64 v[2:3], v[2:3], 3, v[8:9]
	global_load_dwordx2 v[2:3], v[2:3], off
.LBB17_9:                               ;   in Loop: Header=BB17_7 Depth=2
	s_or_b64 exec, exec, s[16:17]
	v_add_u32_e32 v1, s18, v14
	s_waitcnt vmcnt(0)
	ds_write_b64 v17, v[2:3]
	v_cndmask_b32_e64 v2, v23, v1, s[6:7]
	v_cndmask_b32_e64 v3, v1, v23, s[6:7]
	v_cmp_gt_i32_e32 vcc, v2, v3
	s_nop 1
	v_cndmask_b32_e32 v2, v1, v23, vcc
	v_cndmask_b32_e32 v3, v23, v1, vcc
	v_max_i32_e32 v1, v2, v3
	v_cmp_gt_i32_e32 vcc, s38, v1
	v_mov_b32_e32 v1, 0
	s_and_saveexec_b64 s[16:17], vcc
	s_cbranch_execz .LBB17_11
; %bb.10:                               ;   in Loop: Header=BB17_7 Depth=2
	v_ashrrev_i32_e32 v0, 31, v3
	v_mul_lo_u32 v4, s13, v3
	v_mul_lo_u32 v5, s12, v0
	v_mad_u64_u32 v[0:1], s[22:23], s12, v3, 0
	v_add3_u32 v1, v1, v5, v4
	v_ashrrev_i32_e32 v3, 31, v2
	v_lshl_add_u64 v[0:1], v[0:1], 3, s[10:11]
	v_lshl_add_u64 v[0:1], v[2:3], 3, v[0:1]
	global_load_dwordx2 v[0:1], v[0:1], off
.LBB17_11:                              ;   in Loop: Header=BB17_7 Depth=2
	s_or_b64 exec, exec, s[16:17]
	s_waitcnt vmcnt(0)
	ds_write_b64 v19, v[0:1]
	s_waitcnt lgkmcnt(0)
	s_barrier
	s_and_saveexec_b64 s[16:17], s[14:15]
	s_cbranch_execz .LBB17_6
; %bb.12:                               ;   in Loop: Header=BB17_7 Depth=2
	ds_read2_b64 v[0:3], v18 offset1:32
	ds_read_b128 v[4:7], v16
	ds_read_b128 v[24:27], v16 offset:16
	ds_read_b128 v[28:31], v16 offset:32
	;; [unrolled: 1-line block ×3, first 2 shown]
	s_waitcnt lgkmcnt(3)
	v_mul_f32_e32 v36, v1, v5
	v_fma_f32 v36, v0, v4, -v36
	v_mul_f32_e32 v0, v0, v5
	v_fmac_f32_e32 v0, v1, v4
	v_add_f32_e32 v1, 0, v36
	ds_read2_b64 v[36:39], v18 offset0:64 offset1:96
	v_mul_f32_e32 v4, v3, v7
	v_fma_f32 v4, v2, v6, -v4
	v_mul_f32_e32 v2, v2, v7
	v_add_f32_e32 v0, 0, v0
	v_fmac_f32_e32 v2, v3, v6
	s_waitcnt lgkmcnt(0)
	v_mul_f32_e32 v3, v36, v25
	v_add_f32_e32 v0, v0, v2
	v_mul_f32_e32 v2, v37, v25
	v_fmac_f32_e32 v3, v37, v24
	v_add_f32_e32 v1, v1, v4
	v_fma_f32 v2, v36, v24, -v2
	v_add_f32_e32 v5, v0, v3
	v_mul_f32_e32 v0, v39, v27
	v_add_f32_e32 v4, v1, v2
	v_fma_f32 v6, v38, v26, -v0
	ds_read2_b64 v[0:3], v18 offset0:128 offset1:160
	v_mul_f32_e32 v7, v38, v27
	v_add_f32_e32 v4, v4, v6
	v_fmac_f32_e32 v7, v39, v26
	v_add_f32_e32 v5, v5, v7
	s_waitcnt lgkmcnt(0)
	v_mul_f32_e32 v6, v1, v29
	v_fma_f32 v6, v0, v28, -v6
	v_mul_f32_e32 v0, v0, v29
	v_fmac_f32_e32 v0, v1, v28
	v_add_f32_e32 v1, v4, v6
	v_mul_f32_e32 v4, v3, v31
	v_add_f32_e32 v0, v5, v0
	v_fma_f32 v24, v2, v30, -v4
	ds_read2_b64 v[4:7], v18 offset0:192 offset1:224
	v_mul_f32_e32 v2, v2, v31
	v_fmac_f32_e32 v2, v3, v30
	v_add_f32_e32 v0, v0, v2
	v_add_f32_e32 v1, v1, v24
	s_waitcnt lgkmcnt(0)
	v_mul_f32_e32 v3, v4, v33
	v_mul_f32_e32 v2, v5, v33
	v_fmac_f32_e32 v3, v5, v32
	v_fma_f32 v2, v4, v32, -v2
	v_add_f32_e32 v5, v0, v3
	v_mul_f32_e32 v0, v7, v35
	v_add_f32_e32 v4, v1, v2
	v_fma_f32 v28, v6, v34, -v0
	ds_read_b128 v[0:3], v16 offset:64
	ds_read2_b64 v[24:27], v20 offset1:32
	v_mul_f32_e32 v6, v6, v35
	v_fmac_f32_e32 v6, v7, v34
	v_add_f32_e32 v28, v4, v28
	v_add_f32_e32 v29, v5, v6
	s_waitcnt lgkmcnt(0)
	v_mul_f32_e32 v30, v25, v1
	v_mul_f32_e32 v1, v24, v1
	v_fma_f32 v30, v24, v0, -v30
	v_fmac_f32_e32 v1, v25, v0
	ds_read_b128 v[4:7], v16 offset:80
	v_add_f32_e32 v0, v28, v30
	v_add_f32_e32 v1, v29, v1
	ds_read2_b64 v[28:31], v20 offset0:64 offset1:96
	v_mul_f32_e32 v24, v27, v3
	v_mul_f32_e32 v3, v26, v3
	v_fma_f32 v24, v26, v2, -v24
	v_fmac_f32_e32 v3, v27, v2
	s_waitcnt lgkmcnt(0)
	v_mul_f32_e32 v2, v29, v5
	v_add_f32_e32 v0, v0, v24
	v_add_f32_e32 v1, v1, v3
	v_fma_f32 v2, v28, v4, -v2
	v_mul_f32_e32 v3, v28, v5
	v_fmac_f32_e32 v3, v29, v4
	v_add_f32_e32 v4, v0, v2
	v_mul_f32_e32 v0, v31, v7
	v_add_f32_e32 v5, v1, v3
	v_fma_f32 v28, v30, v6, -v0
	ds_read_b128 v[0:3], v16 offset:96
	ds_read2_b64 v[24:27], v20 offset0:128 offset1:160
	v_mul_f32_e32 v7, v30, v7
	v_fmac_f32_e32 v7, v31, v6
	v_add_f32_e32 v28, v4, v28
	v_add_f32_e32 v29, v5, v7
	s_waitcnt lgkmcnt(0)
	v_mul_f32_e32 v30, v25, v1
	v_mul_f32_e32 v1, v24, v1
	v_fma_f32 v30, v24, v0, -v30
	v_fmac_f32_e32 v1, v25, v0
	ds_read_b128 v[4:7], v16 offset:112
	v_add_f32_e32 v0, v28, v30
	v_add_f32_e32 v1, v29, v1
	ds_read2_b64 v[28:31], v20 offset0:192 offset1:224
	v_mul_f32_e32 v24, v27, v3
	v_mul_f32_e32 v3, v26, v3
	v_fma_f32 v24, v26, v2, -v24
	v_fmac_f32_e32 v3, v27, v2
	s_waitcnt lgkmcnt(0)
	v_mul_f32_e32 v2, v29, v5
	v_add_f32_e32 v0, v0, v24
	v_add_f32_e32 v1, v1, v3
	v_fma_f32 v2, v28, v4, -v2
	v_mul_f32_e32 v3, v28, v5
	v_fmac_f32_e32 v3, v29, v4
	v_add_f32_e32 v4, v0, v2
	v_mul_f32_e32 v0, v31, v7
	v_add_f32_e32 v5, v1, v3
	v_fma_f32 v28, v30, v6, -v0
	ds_read_b128 v[0:3], v16 offset:128
	ds_read2_b64 v[24:27], v21 offset1:32
	v_mul_f32_e32 v7, v30, v7
	v_fmac_f32_e32 v7, v31, v6
	v_add_f32_e32 v4, v4, v28
	ds_read_b128 v[28:31], v16 offset:144
	ds_read2_b64 v[32:35], v21 offset0:64 offset1:96
	s_waitcnt lgkmcnt(2)
	v_mul_f32_e32 v6, v25, v1
	v_fma_f32 v6, v24, v0, -v6
	v_mul_f32_e32 v1, v24, v1
	v_add_f32_e32 v5, v5, v7
	v_fmac_f32_e32 v1, v25, v0
	v_add_f32_e32 v0, v4, v6
	v_mul_f32_e32 v4, v27, v3
	v_mul_f32_e32 v3, v26, v3
	v_add_f32_e32 v1, v5, v1
	v_fma_f32 v4, v26, v2, -v4
	v_fmac_f32_e32 v3, v27, v2
	s_waitcnt lgkmcnt(0)
	v_mul_f32_e32 v2, v33, v29
	v_add_f32_e32 v0, v0, v4
	v_add_f32_e32 v1, v1, v3
	v_fma_f32 v2, v32, v28, -v2
	v_mul_f32_e32 v3, v32, v29
	v_fmac_f32_e32 v3, v33, v28
	v_add_f32_e32 v24, v0, v2
	v_mul_f32_e32 v0, v35, v31
	v_add_f32_e32 v25, v1, v3
	v_fma_f32 v26, v34, v30, -v0
	ds_read_b128 v[0:3], v16 offset:160
	ds_read2_b64 v[4:7], v21 offset0:128 offset1:160
	global_load_dwordx2 v[32:33], v[12:13], off
	v_mul_f32_e32 v27, v34, v31
	v_fmac_f32_e32 v27, v35, v30
	v_add_f32_e32 v28, v24, v26
	s_waitcnt lgkmcnt(0)
	v_mul_f32_e32 v30, v5, v1
	v_mul_f32_e32 v1, v4, v1
	v_add_f32_e32 v29, v25, v27
	v_fma_f32 v30, v4, v0, -v30
	v_fmac_f32_e32 v1, v5, v0
	ds_read_b128 v[24:27], v16 offset:176
	v_add_f32_e32 v0, v28, v30
	v_add_f32_e32 v1, v29, v1
	ds_read2_b64 v[28:31], v21 offset0:192 offset1:224
	v_mul_f32_e32 v4, v7, v3
	v_mul_f32_e32 v3, v6, v3
	v_fma_f32 v4, v6, v2, -v4
	v_fmac_f32_e32 v3, v7, v2
	s_waitcnt lgkmcnt(0)
	v_mul_f32_e32 v2, v29, v25
	v_add_f32_e32 v0, v0, v4
	v_add_f32_e32 v1, v1, v3
	v_fma_f32 v2, v28, v24, -v2
	v_mul_f32_e32 v3, v28, v25
	v_fmac_f32_e32 v3, v29, v24
	v_add_f32_e32 v24, v0, v2
	v_mul_f32_e32 v0, v31, v27
	v_add_f32_e32 v25, v1, v3
	v_fma_f32 v28, v30, v26, -v0
	ds_read_b128 v[0:3], v16 offset:192
	ds_read2_b64 v[4:7], v22 offset1:32
	v_mul_f32_e32 v27, v30, v27
	v_fmac_f32_e32 v27, v31, v26
	v_add_f32_e32 v28, v24, v28
	v_add_f32_e32 v29, v25, v27
	s_waitcnt lgkmcnt(0)
	v_mul_f32_e32 v30, v5, v1
	v_mul_f32_e32 v1, v4, v1
	v_fma_f32 v30, v4, v0, -v30
	v_fmac_f32_e32 v1, v5, v0
	ds_read_b128 v[24:27], v16 offset:208
	v_add_f32_e32 v0, v28, v30
	v_add_f32_e32 v1, v29, v1
	ds_read2_b64 v[28:31], v22 offset0:64 offset1:96
	v_mul_f32_e32 v4, v7, v3
	v_mul_f32_e32 v3, v6, v3
	v_fma_f32 v4, v6, v2, -v4
	v_fmac_f32_e32 v3, v7, v2
	s_waitcnt lgkmcnt(0)
	v_mul_f32_e32 v2, v29, v25
	v_add_f32_e32 v0, v0, v4
	v_add_f32_e32 v1, v1, v3
	v_fma_f32 v2, v28, v24, -v2
	v_mul_f32_e32 v3, v28, v25
	v_fmac_f32_e32 v3, v29, v24
	v_add_f32_e32 v24, v0, v2
	v_mul_f32_e32 v0, v31, v27
	v_add_f32_e32 v25, v1, v3
	v_fma_f32 v28, v30, v26, -v0
	ds_read_b128 v[0:3], v16 offset:224
	ds_read2_b64 v[4:7], v22 offset0:128 offset1:160
	v_mul_f32_e32 v27, v30, v27
	v_fmac_f32_e32 v27, v31, v26
	v_add_f32_e32 v28, v24, v28
	v_add_f32_e32 v29, v25, v27
	s_waitcnt lgkmcnt(0)
	v_mul_f32_e32 v30, v5, v1
	v_mul_f32_e32 v1, v4, v1
	v_fma_f32 v30, v4, v0, -v30
	v_fmac_f32_e32 v1, v5, v0
	ds_read_b128 v[24:27], v16 offset:240
	v_add_f32_e32 v0, v28, v30
	v_add_f32_e32 v1, v29, v1
	ds_read2_b64 v[28:31], v22 offset0:192 offset1:224
	v_mul_f32_e32 v4, v7, v3
	v_mul_f32_e32 v3, v6, v3
	v_fmac_f32_e32 v3, v7, v2
	v_fma_f32 v4, v6, v2, -v4
	v_add_f32_e32 v1, v1, v3
	s_waitcnt lgkmcnt(0)
	v_mul_f32_e32 v2, v29, v25
	v_mul_f32_e32 v3, v28, v25
	v_add_f32_e32 v0, v0, v4
	v_fma_f32 v2, v28, v24, -v2
	v_fmac_f32_e32 v3, v29, v24
	v_add_f32_e32 v0, v0, v2
	v_add_f32_e32 v1, v1, v3
	v_mul_f32_e32 v2, v31, v27
	v_mul_f32_e32 v3, v30, v27
	v_fma_f32 v2, v30, v26, -v2
	v_fmac_f32_e32 v3, v31, v26
	v_add_f32_e32 v0, v0, v2
	v_add_f32_e32 v2, v1, v3
	v_pk_mul_f32 v[2:3], s[0:1], v[2:3] op_sel_hi:[1,0]
	s_nop 0
	v_pk_fma_f32 v[4:5], s[34:35], v[0:1], v[2:3] neg_lo:[0,0,1] neg_hi:[0,0,1]
	v_pk_fma_f32 v[0:1], s[34:35], v[0:1], v[2:3] op_sel_hi:[1,0,1]
	s_nop 0
	v_mov_b32_e32 v5, v1
	s_waitcnt vmcnt(0)
	v_pk_add_f32 v[0:1], v[32:33], v[4:5]
	global_store_dwordx2 v[12:13], v[0:1], off
	s_branch .LBB17_6
.LBB17_13:
	s_endpgm
	.section	.rodata,"a",@progbits
	.p2align	6, 0x0
	.amdhsa_kernel _ZL24rocblas_symm_hemm_kernelILb0ELb1ELi32E19rocblas_complex_numIfEPKS1_PS1_EvbiiT2_T3_lllS6_lllT4_llli
		.amdhsa_group_segment_fixed_size 16384
		.amdhsa_private_segment_fixed_size 0
		.amdhsa_kernarg_size 384
		.amdhsa_user_sgpr_count 2
		.amdhsa_user_sgpr_dispatch_ptr 0
		.amdhsa_user_sgpr_queue_ptr 0
		.amdhsa_user_sgpr_kernarg_segment_ptr 1
		.amdhsa_user_sgpr_dispatch_id 0
		.amdhsa_user_sgpr_kernarg_preload_length 0
		.amdhsa_user_sgpr_kernarg_preload_offset 0
		.amdhsa_user_sgpr_private_segment_size 0
		.amdhsa_uses_dynamic_stack 0
		.amdhsa_enable_private_segment 0
		.amdhsa_system_sgpr_workgroup_id_x 1
		.amdhsa_system_sgpr_workgroup_id_y 1
		.amdhsa_system_sgpr_workgroup_id_z 1
		.amdhsa_system_sgpr_workgroup_info 0
		.amdhsa_system_vgpr_workitem_id 1
		.amdhsa_next_free_vgpr 40
		.amdhsa_next_free_sgpr 40
		.amdhsa_accum_offset 40
		.amdhsa_reserve_vcc 1
		.amdhsa_float_round_mode_32 0
		.amdhsa_float_round_mode_16_64 0
		.amdhsa_float_denorm_mode_32 3
		.amdhsa_float_denorm_mode_16_64 3
		.amdhsa_dx10_clamp 1
		.amdhsa_ieee_mode 1
		.amdhsa_fp16_overflow 0
		.amdhsa_tg_split 0
		.amdhsa_exception_fp_ieee_invalid_op 0
		.amdhsa_exception_fp_denorm_src 0
		.amdhsa_exception_fp_ieee_div_zero 0
		.amdhsa_exception_fp_ieee_overflow 0
		.amdhsa_exception_fp_ieee_underflow 0
		.amdhsa_exception_fp_ieee_inexact 0
		.amdhsa_exception_int_div_zero 0
	.end_amdhsa_kernel
	.section	.text._ZL24rocblas_symm_hemm_kernelILb0ELb1ELi32E19rocblas_complex_numIfEPKS1_PS1_EvbiiT2_T3_lllS6_lllT4_llli,"axG",@progbits,_ZL24rocblas_symm_hemm_kernelILb0ELb1ELi32E19rocblas_complex_numIfEPKS1_PS1_EvbiiT2_T3_lllS6_lllT4_llli,comdat
.Lfunc_end17:
	.size	_ZL24rocblas_symm_hemm_kernelILb0ELb1ELi32E19rocblas_complex_numIfEPKS1_PS1_EvbiiT2_T3_lllS6_lllT4_llli, .Lfunc_end17-_ZL24rocblas_symm_hemm_kernelILb0ELb1ELi32E19rocblas_complex_numIfEPKS1_PS1_EvbiiT2_T3_lllS6_lllT4_llli
                                        ; -- End function
	.set _ZL24rocblas_symm_hemm_kernelILb0ELb1ELi32E19rocblas_complex_numIfEPKS1_PS1_EvbiiT2_T3_lllS6_lllT4_llli.num_vgpr, 40
	.set _ZL24rocblas_symm_hemm_kernelILb0ELb1ELi32E19rocblas_complex_numIfEPKS1_PS1_EvbiiT2_T3_lllS6_lllT4_llli.num_agpr, 0
	.set _ZL24rocblas_symm_hemm_kernelILb0ELb1ELi32E19rocblas_complex_numIfEPKS1_PS1_EvbiiT2_T3_lllS6_lllT4_llli.numbered_sgpr, 40
	.set _ZL24rocblas_symm_hemm_kernelILb0ELb1ELi32E19rocblas_complex_numIfEPKS1_PS1_EvbiiT2_T3_lllS6_lllT4_llli.num_named_barrier, 0
	.set _ZL24rocblas_symm_hemm_kernelILb0ELb1ELi32E19rocblas_complex_numIfEPKS1_PS1_EvbiiT2_T3_lllS6_lllT4_llli.private_seg_size, 0
	.set _ZL24rocblas_symm_hemm_kernelILb0ELb1ELi32E19rocblas_complex_numIfEPKS1_PS1_EvbiiT2_T3_lllS6_lllT4_llli.uses_vcc, 1
	.set _ZL24rocblas_symm_hemm_kernelILb0ELb1ELi32E19rocblas_complex_numIfEPKS1_PS1_EvbiiT2_T3_lllS6_lllT4_llli.uses_flat_scratch, 0
	.set _ZL24rocblas_symm_hemm_kernelILb0ELb1ELi32E19rocblas_complex_numIfEPKS1_PS1_EvbiiT2_T3_lllS6_lllT4_llli.has_dyn_sized_stack, 0
	.set _ZL24rocblas_symm_hemm_kernelILb0ELb1ELi32E19rocblas_complex_numIfEPKS1_PS1_EvbiiT2_T3_lllS6_lllT4_llli.has_recursion, 0
	.set _ZL24rocblas_symm_hemm_kernelILb0ELb1ELi32E19rocblas_complex_numIfEPKS1_PS1_EvbiiT2_T3_lllS6_lllT4_llli.has_indirect_call, 0
	.section	.AMDGPU.csdata,"",@progbits
; Kernel info:
; codeLenInByte = 2032
; TotalNumSgprs: 46
; NumVgprs: 40
; NumAgprs: 0
; TotalNumVgprs: 40
; ScratchSize: 0
; MemoryBound: 0
; FloatMode: 240
; IeeeMode: 1
; LDSByteSize: 16384 bytes/workgroup (compile time only)
; SGPRBlocks: 5
; VGPRBlocks: 4
; NumSGPRsForWavesPerEU: 46
; NumVGPRsForWavesPerEU: 40
; AccumOffset: 40
; Occupancy: 8
; WaveLimiterHint : 0
; COMPUTE_PGM_RSRC2:SCRATCH_EN: 0
; COMPUTE_PGM_RSRC2:USER_SGPR: 2
; COMPUTE_PGM_RSRC2:TRAP_HANDLER: 0
; COMPUTE_PGM_RSRC2:TGID_X_EN: 1
; COMPUTE_PGM_RSRC2:TGID_Y_EN: 1
; COMPUTE_PGM_RSRC2:TGID_Z_EN: 1
; COMPUTE_PGM_RSRC2:TIDIG_COMP_CNT: 1
; COMPUTE_PGM_RSRC3_GFX90A:ACCUM_OFFSET: 9
; COMPUTE_PGM_RSRC3_GFX90A:TG_SPLIT: 0
	.section	.text._ZL25rocblas_symm_scale_kernelILi128ELi8EPK19rocblas_complex_numIdEPS1_EviiT1_T2_llli,"axG",@progbits,_ZL25rocblas_symm_scale_kernelILi128ELi8EPK19rocblas_complex_numIdEPS1_EviiT1_T2_llli,comdat
	.globl	_ZL25rocblas_symm_scale_kernelILi128ELi8EPK19rocblas_complex_numIdEPS1_EviiT1_T2_llli ; -- Begin function _ZL25rocblas_symm_scale_kernelILi128ELi8EPK19rocblas_complex_numIdEPS1_EviiT1_T2_llli
	.p2align	8
	.type	_ZL25rocblas_symm_scale_kernelILi128ELi8EPK19rocblas_complex_numIdEPS1_EviiT1_T2_llli,@function
_ZL25rocblas_symm_scale_kernelILi128ELi8EPK19rocblas_complex_numIdEPS1_EviiT1_T2_llli: ; @_ZL25rocblas_symm_scale_kernelILi128ELi8EPK19rocblas_complex_numIdEPS1_EviiT1_T2_llli
; %bb.0:
	s_load_dwordx8 s[8:15], s[0:1], 0x8
	s_waitcnt lgkmcnt(0)
	s_load_dwordx4 s[16:19], s[8:9], 0x0
	s_waitcnt lgkmcnt(0)
	v_cmp_eq_f64_e64 s[6:7], s[16:17], 1.0
	v_cmp_eq_f64_e64 s[8:9], s[18:19], 0
	s_and_b64 s[6:7], s[6:7], s[8:9]
	s_and_b64 vcc, exec, s[6:7]
	s_cbranch_vccnz .LBB18_6
; %bb.1:
	s_load_dwordx2 s[8:9], s[0:1], 0x0
	v_and_b32_e32 v1, 0x3ff, v0
	v_bfe_u32 v0, v0, 10, 10
	v_lshl_add_u32 v2, s2, 7, v1
	v_lshl_add_u32 v4, s3, 3, v0
	v_mov_b32_e32 v5, 0
	s_waitcnt lgkmcnt(0)
	s_ashr_i32 s7, s9, 31
	s_mov_b32 s6, s9
	v_cmp_gt_u32_e32 vcc, s8, v2
	v_cmp_gt_i64_e64 s[2:3], s[6:7], v[4:5]
	s_and_b64 s[2:3], vcc, s[2:3]
	s_and_saveexec_b64 s[8:9], s[2:3]
	s_cbranch_execz .LBB18_6
; %bb.2:
	s_load_dwordx2 s[20:21], s[0:1], 0x28
	s_load_dword s5, s[0:1], 0x3c
	v_cmp_neq_f64_e64 s[8:9], s[16:17], 0
	v_cmp_neq_f64_e64 s[0:1], s[18:19], 0
	s_or_b64 s[0:1], s[8:9], s[0:1]
	s_lshl_b64 s[12:13], s[12:13], 4
	s_waitcnt lgkmcnt(0)
	s_lshl_b32 s8, s5, 3
	s_mul_i32 s5, s21, s4
	s_mul_hi_u32 s21, s20, s4
	s_add_i32 s5, s21, s5
	s_mul_i32 s4, s20, s4
	v_mad_u64_u32 v[0:1], s[20:21], s14, v4, 0
	s_lshl_b64 s[4:5], s[4:5], 4
	v_mov_b32_e32 v6, v1
	v_mad_u64_u32 v[6:7], s[20:21], s15, v4, v[6:7]
	s_add_u32 s4, s12, s4
	v_mov_b32_e32 v1, v6
	s_addc_u32 s5, s13, s5
	v_mov_b32_e32 v3, v5
	v_lshl_add_u64 v[0:1], v[0:1], 4, s[4:5]
	v_lshl_add_u64 v[0:1], v[2:3], 4, v[0:1]
	v_lshl_add_u64 v[0:1], s[10:11], 0, v[0:1]
	s_mul_i32 s4, s15, s8
	s_mul_hi_u32 s5, s14, s8
	v_lshl_add_u64 v[6:7], v[0:1], 0, 8
	s_add_i32 s5, s5, s4
	s_mul_i32 s4, s14, s8
	v_cndmask_b32_e64 v0, 0, 1, s[0:1]
	s_mov_b64 s[2:3], 0
	s_mov_b32 s9, 0
	s_lshl_b64 s[4:5], s[4:5], 4
	v_cmp_ne_u32_e64 s[0:1], 1, v0
	s_branch .LBB18_4
.LBB18_3:                               ;   in Loop: Header=BB18_4 Depth=1
	v_lshl_add_u64 v[4:5], v[4:5], 0, s[8:9]
	v_cmp_le_i64_e32 vcc, s[6:7], v[4:5]
	global_store_dwordx4 v[6:7], v[0:3], off offset:-8
	s_or_b64 s[2:3], vcc, s[2:3]
	v_lshl_add_u64 v[6:7], v[6:7], 0, s[4:5]
	s_andn2_b64 exec, exec, s[2:3]
	s_cbranch_execz .LBB18_6
.LBB18_4:                               ; =>This Inner Loop Header: Depth=1
	v_mov_b64_e32 v[2:3], 0
	s_and_b64 vcc, exec, s[0:1]
	v_mov_b64_e32 v[0:1], 0
	s_cbranch_vccnz .LBB18_3
; %bb.5:                                ;   in Loop: Header=BB18_4 Depth=1
	global_load_dwordx4 v[8:11], v[6:7], off offset:-8
	s_waitcnt vmcnt(0)
	v_mul_f64 v[0:1], s[18:19], v[10:11]
	v_mul_f64 v[2:3], s[16:17], v[10:11]
	v_fma_f64 v[0:1], s[16:17], v[8:9], -v[0:1]
	v_fmac_f64_e32 v[2:3], s[18:19], v[8:9]
	s_branch .LBB18_3
.LBB18_6:
	s_endpgm
	.section	.rodata,"a",@progbits
	.p2align	6, 0x0
	.amdhsa_kernel _ZL25rocblas_symm_scale_kernelILi128ELi8EPK19rocblas_complex_numIdEPS1_EviiT1_T2_llli
		.amdhsa_group_segment_fixed_size 0
		.amdhsa_private_segment_fixed_size 0
		.amdhsa_kernarg_size 312
		.amdhsa_user_sgpr_count 2
		.amdhsa_user_sgpr_dispatch_ptr 0
		.amdhsa_user_sgpr_queue_ptr 0
		.amdhsa_user_sgpr_kernarg_segment_ptr 1
		.amdhsa_user_sgpr_dispatch_id 0
		.amdhsa_user_sgpr_kernarg_preload_length 0
		.amdhsa_user_sgpr_kernarg_preload_offset 0
		.amdhsa_user_sgpr_private_segment_size 0
		.amdhsa_uses_dynamic_stack 0
		.amdhsa_enable_private_segment 0
		.amdhsa_system_sgpr_workgroup_id_x 1
		.amdhsa_system_sgpr_workgroup_id_y 1
		.amdhsa_system_sgpr_workgroup_id_z 1
		.amdhsa_system_sgpr_workgroup_info 0
		.amdhsa_system_vgpr_workitem_id 1
		.amdhsa_next_free_vgpr 12
		.amdhsa_next_free_sgpr 22
		.amdhsa_accum_offset 12
		.amdhsa_reserve_vcc 1
		.amdhsa_float_round_mode_32 0
		.amdhsa_float_round_mode_16_64 0
		.amdhsa_float_denorm_mode_32 3
		.amdhsa_float_denorm_mode_16_64 3
		.amdhsa_dx10_clamp 1
		.amdhsa_ieee_mode 1
		.amdhsa_fp16_overflow 0
		.amdhsa_tg_split 0
		.amdhsa_exception_fp_ieee_invalid_op 0
		.amdhsa_exception_fp_denorm_src 0
		.amdhsa_exception_fp_ieee_div_zero 0
		.amdhsa_exception_fp_ieee_overflow 0
		.amdhsa_exception_fp_ieee_underflow 0
		.amdhsa_exception_fp_ieee_inexact 0
		.amdhsa_exception_int_div_zero 0
	.end_amdhsa_kernel
	.section	.text._ZL25rocblas_symm_scale_kernelILi128ELi8EPK19rocblas_complex_numIdEPS1_EviiT1_T2_llli,"axG",@progbits,_ZL25rocblas_symm_scale_kernelILi128ELi8EPK19rocblas_complex_numIdEPS1_EviiT1_T2_llli,comdat
.Lfunc_end18:
	.size	_ZL25rocblas_symm_scale_kernelILi128ELi8EPK19rocblas_complex_numIdEPS1_EviiT1_T2_llli, .Lfunc_end18-_ZL25rocblas_symm_scale_kernelILi128ELi8EPK19rocblas_complex_numIdEPS1_EviiT1_T2_llli
                                        ; -- End function
	.set _ZL25rocblas_symm_scale_kernelILi128ELi8EPK19rocblas_complex_numIdEPS1_EviiT1_T2_llli.num_vgpr, 12
	.set _ZL25rocblas_symm_scale_kernelILi128ELi8EPK19rocblas_complex_numIdEPS1_EviiT1_T2_llli.num_agpr, 0
	.set _ZL25rocblas_symm_scale_kernelILi128ELi8EPK19rocblas_complex_numIdEPS1_EviiT1_T2_llli.numbered_sgpr, 22
	.set _ZL25rocblas_symm_scale_kernelILi128ELi8EPK19rocblas_complex_numIdEPS1_EviiT1_T2_llli.num_named_barrier, 0
	.set _ZL25rocblas_symm_scale_kernelILi128ELi8EPK19rocblas_complex_numIdEPS1_EviiT1_T2_llli.private_seg_size, 0
	.set _ZL25rocblas_symm_scale_kernelILi128ELi8EPK19rocblas_complex_numIdEPS1_EviiT1_T2_llli.uses_vcc, 1
	.set _ZL25rocblas_symm_scale_kernelILi128ELi8EPK19rocblas_complex_numIdEPS1_EviiT1_T2_llli.uses_flat_scratch, 0
	.set _ZL25rocblas_symm_scale_kernelILi128ELi8EPK19rocblas_complex_numIdEPS1_EviiT1_T2_llli.has_dyn_sized_stack, 0
	.set _ZL25rocblas_symm_scale_kernelILi128ELi8EPK19rocblas_complex_numIdEPS1_EviiT1_T2_llli.has_recursion, 0
	.set _ZL25rocblas_symm_scale_kernelILi128ELi8EPK19rocblas_complex_numIdEPS1_EviiT1_T2_llli.has_indirect_call, 0
	.section	.AMDGPU.csdata,"",@progbits
; Kernel info:
; codeLenInByte = 420
; TotalNumSgprs: 28
; NumVgprs: 12
; NumAgprs: 0
; TotalNumVgprs: 12
; ScratchSize: 0
; MemoryBound: 0
; FloatMode: 240
; IeeeMode: 1
; LDSByteSize: 0 bytes/workgroup (compile time only)
; SGPRBlocks: 3
; VGPRBlocks: 1
; NumSGPRsForWavesPerEU: 28
; NumVGPRsForWavesPerEU: 12
; AccumOffset: 12
; Occupancy: 8
; WaveLimiterHint : 0
; COMPUTE_PGM_RSRC2:SCRATCH_EN: 0
; COMPUTE_PGM_RSRC2:USER_SGPR: 2
; COMPUTE_PGM_RSRC2:TRAP_HANDLER: 0
; COMPUTE_PGM_RSRC2:TGID_X_EN: 1
; COMPUTE_PGM_RSRC2:TGID_Y_EN: 1
; COMPUTE_PGM_RSRC2:TGID_Z_EN: 1
; COMPUTE_PGM_RSRC2:TIDIG_COMP_CNT: 1
; COMPUTE_PGM_RSRC3_GFX90A:ACCUM_OFFSET: 2
; COMPUTE_PGM_RSRC3_GFX90A:TG_SPLIT: 0
	.section	.text._ZL24rocblas_symm_hemm_kernelILb0ELb0ELi32EPK19rocblas_complex_numIdES3_PS1_EvbiiT2_T3_lllS6_lllT4_llli,"axG",@progbits,_ZL24rocblas_symm_hemm_kernelILb0ELb0ELi32EPK19rocblas_complex_numIdES3_PS1_EvbiiT2_T3_lllS6_lllT4_llli,comdat
	.globl	_ZL24rocblas_symm_hemm_kernelILb0ELb0ELi32EPK19rocblas_complex_numIdES3_PS1_EvbiiT2_T3_lllS6_lllT4_llli ; -- Begin function _ZL24rocblas_symm_hemm_kernelILb0ELb0ELi32EPK19rocblas_complex_numIdES3_PS1_EvbiiT2_T3_lllS6_lllT4_llli
	.p2align	8
	.type	_ZL24rocblas_symm_hemm_kernelILb0ELb0ELi32EPK19rocblas_complex_numIdES3_PS1_EvbiiT2_T3_lllS6_lllT4_llli,@function
_ZL24rocblas_symm_hemm_kernelILb0ELb0ELi32EPK19rocblas_complex_numIdES3_PS1_EvbiiT2_T3_lllS6_lllT4_llli: ; @_ZL24rocblas_symm_hemm_kernelILb0ELb0ELi32EPK19rocblas_complex_numIdES3_PS1_EvbiiT2_T3_lllS6_lllT4_llli
; %bb.0:
	s_load_dwordx16 s[8:23], s[0:1], 0x10
	s_waitcnt lgkmcnt(0)
	s_load_dwordx4 s[36:39], s[8:9], 0x0
	s_waitcnt lgkmcnt(0)
	v_cmp_eq_f64_e64 s[6:7], s[36:37], 0
	v_cmp_eq_f64_e64 s[8:9], s[38:39], 0
	s_and_b64 s[6:7], s[6:7], s[8:9]
	s_and_b64 vcc, exec, s[6:7]
	s_cbranch_vccnz .LBB19_13
; %bb.1:
	s_load_dwordx4 s[40:43], s[0:1], 0x0
	s_waitcnt lgkmcnt(0)
	s_add_i32 s5, s42, -1
	s_ashr_i32 s6, s5, 31
	s_lshr_b32 s6, s6, 27
	s_add_i32 s5, s5, s6
	s_ashr_i32 s33, s5, 5
	s_cmp_gt_i32 s3, s33
	s_cbranch_scc1 .LBB19_13
; %bb.2:
	s_mul_i32 s5, s17, s4
	s_mul_hi_u32 s6, s16, s4
	s_load_dwordx8 s[24:31], s[0:1], 0x50
	s_load_dwordx2 s[8:9], s[0:1], 0x70
	s_add_i32 s7, s6, s5
	s_mul_i32 s6, s16, s4
	s_lshl_b64 s[6:7], s[6:7], 4
	s_add_u32 s5, s10, s6
	s_addc_u32 s11, s11, s7
	s_lshl_b64 s[6:7], s[12:13], 4
	s_add_u32 s10, s5, s6
	s_waitcnt lgkmcnt(0)
	s_mul_i32 s5, s25, s4
	s_mul_hi_u32 s6, s24, s4
	s_addc_u32 s11, s11, s7
	s_add_i32 s7, s6, s5
	s_mul_i32 s6, s24, s4
	s_lshl_b64 s[6:7], s[6:7], 4
	s_add_u32 s5, s18, s6
	s_addc_u32 s13, s19, s7
	s_lshl_b64 s[6:7], s[20:21], 4
	s_add_u32 s12, s5, s6
	s_addc_u32 s13, s13, s7
	s_bitcmp1_b32 s40, 0
	s_load_dword s20, s[0:1], 0x84
	s_mul_i32 s0, s9, s4
	s_mul_hi_u32 s1, s8, s4
	s_cselect_b64 s[6:7], -1, 0
	s_add_i32 s1, s1, s0
	s_mul_i32 s0, s8, s4
	s_lshl_b64 s[0:1], s[0:1], 4
	s_add_u32 s4, s26, s0
	s_addc_u32 s5, s27, s1
	s_lshl_b64 s[0:1], s[28:29], 4
	s_add_u32 s4, s4, s0
	v_and_b32_e32 v30, 0x3ff, v0
	s_addc_u32 s5, s5, s1
	v_lshl_add_u32 v16, s2, 5, v30
	v_bfe_u32 v31, v0, 10, 10
	s_cmp_gt_i32 s41, 0
	v_ashrrev_i32_e32 v17, 31, v16
	v_lshlrev_b32_e32 v32, 9, v30
	v_lshlrev_b32_e32 v0, 4, v31
	v_lshl_add_u64 v[18:19], v[16:17], 4, s[4:5]
	s_cselect_b64 s[4:5], -1, 0
	v_add_u32_e32 v33, v32, v0
	v_or_b32_e32 v34, 0x4000, v0
	v_cndmask_b32_e64 v0, 0, 1, s[4:5]
	v_add_u32_e32 v35, v34, v32
	v_cmp_gt_i32_e64 s[0:1], s41, v16
	v_cmp_ne_u32_e64 s[4:5], 1, v0
	s_branch .LBB19_4
.LBB19_3:                               ;   in Loop: Header=BB19_4 Depth=1
	s_waitcnt lgkmcnt(0)
	s_add_i32 s3, s3, s20
	s_cmp_gt_i32 s3, s33
	s_cbranch_scc1 .LBB19_13
.LBB19_4:                               ; =>This Loop Header: Depth=1
                                        ;     Child Loop BB19_7 Depth 2
	s_and_b64 vcc, exec, s[4:5]
	s_cbranch_vccnz .LBB19_3
; %bb.5:                                ;   in Loop: Header=BB19_4 Depth=1
	v_lshl_add_u32 v2, s3, 5, v31
	v_ashrrev_i32_e32 v3, 31, v2
	v_mul_lo_u32 v4, s22, v3
	v_mul_lo_u32 v5, s23, v2
	v_mad_u64_u32 v[0:1], s[8:9], s22, v2, 0
	v_add3_u32 v1, v1, v4, v5
	v_lshl_add_u64 v[20:21], v[0:1], 4, s[12:13]
	v_mul_lo_u32 v3, s30, v3
	v_mul_lo_u32 v4, s31, v2
	v_mad_u64_u32 v[0:1], s[8:9], s30, v2, 0
	v_cmp_gt_i32_e32 vcc, s42, v2
	v_add3_u32 v1, v1, v3, v4
	s_and_b64 s[16:17], s[0:1], vcc
	v_lshl_add_u64 v[22:23], v[0:1], 4, v[18:19]
	s_mov_b32 s2, 0
	s_branch .LBB19_7
.LBB19_6:                               ;   in Loop: Header=BB19_7 Depth=2
	s_or_b64 exec, exec, s[8:9]
	s_add_i32 s2, s2, 32
	s_cmp_ge_i32 s2, s41
	s_barrier
	s_cbranch_scc1 .LBB19_3
.LBB19_7:                               ;   Parent Loop BB19_4 Depth=1
                                        ; =>  This Inner Loop Header: Depth=2
	v_add_u32_e32 v0, s2, v31
	v_cndmask_b32_e64 v1, v0, v16, s[6:7]
	v_cndmask_b32_e64 v2, v16, v0, s[6:7]
	v_cmp_gt_i32_e64 s[8:9], v1, v2
	v_mov_b64_e32 v[2:3], 0
	v_mov_b64_e32 v[4:5], 0
	v_cndmask_b32_e64 v6, v16, v0, s[8:9]
	v_cndmask_b32_e64 v7, v0, v16, s[8:9]
	v_max_i32_e32 v0, v6, v7
	v_cmp_gt_i32_e64 s[8:9], s41, v0
	v_mov_b64_e32 v[0:1], 0
	s_and_saveexec_b64 s[18:19], s[8:9]
	s_cbranch_execz .LBB19_9
; %bb.8:                                ;   in Loop: Header=BB19_7 Depth=2
	v_ashrrev_i32_e32 v2, 31, v7
	v_mul_lo_u32 v4, s15, v7
	v_mul_lo_u32 v5, s14, v2
	v_mad_u64_u32 v[2:3], s[8:9], s14, v7, 0
	v_add3_u32 v3, v3, v5, v4
	v_ashrrev_i32_e32 v7, 31, v6
	v_lshl_add_u64 v[2:3], v[2:3], 4, s[10:11]
	v_lshl_add_u64 v[2:3], v[6:7], 4, v[2:3]
	global_load_dwordx4 v[2:5], v[2:3], off
.LBB19_9:                               ;   in Loop: Header=BB19_7 Depth=2
	s_or_b64 exec, exec, s[18:19]
	s_waitcnt vmcnt(0)
	ds_write_b128 v33, v[2:5]
	v_add_u32_e32 v4, s2, v30
	v_cmp_gt_i32_e64 s[8:9], s41, v4
	s_and_b64 s[18:19], s[8:9], vcc
	v_mov_b64_e32 v[2:3], 0
	s_and_saveexec_b64 s[8:9], s[18:19]
	s_cbranch_execz .LBB19_11
; %bb.10:                               ;   in Loop: Header=BB19_7 Depth=2
	v_ashrrev_i32_e32 v5, 31, v4
	v_lshl_add_u64 v[0:1], v[4:5], 4, v[20:21]
	global_load_dwordx4 v[0:3], v[0:1], off
.LBB19_11:                              ;   in Loop: Header=BB19_7 Depth=2
	s_or_b64 exec, exec, s[8:9]
	s_waitcnt vmcnt(0)
	ds_write_b128 v35, v[0:3]
	s_waitcnt lgkmcnt(0)
	s_barrier
	s_and_saveexec_b64 s[8:9], s[16:17]
	s_cbranch_execz .LBB19_6
; %bb.12:                               ;   in Loop: Header=BB19_7 Depth=2
	ds_read_b128 v[0:3], v34
	ds_read_b128 v[4:7], v32
	ds_read_b128 v[8:11], v32 offset:16
	ds_read_b128 v[12:15], v32 offset:32
	;; [unrolled: 1-line block ×4, first 2 shown]
	s_waitcnt lgkmcnt(4)
	v_mul_f64 v[28:29], v[2:3], v[6:7]
	v_fma_f64 v[28:29], v[0:1], v[4:5], -v[28:29]
	v_mul_f64 v[0:1], v[0:1], v[6:7]
	v_fmac_f64_e32 v[0:1], v[2:3], v[4:5]
	v_add_f64 v[6:7], v[0:1], 0
	s_waitcnt lgkmcnt(0)
	v_mul_f64 v[0:1], v[38:39], v[10:11]
	v_add_f64 v[4:5], v[28:29], 0
	v_fma_f64 v[28:29], v[36:37], v[8:9], -v[0:1]
	ds_read_b128 v[0:3], v34 offset:1024
	v_mul_f64 v[10:11], v[36:37], v[10:11]
	v_fmac_f64_e32 v[10:11], v[38:39], v[8:9]
	v_add_f64 v[8:9], v[4:5], v[28:29]
	v_add_f64 v[10:11], v[6:7], v[10:11]
	ds_read_b128 v[4:7], v34 offset:1536
	s_waitcnt lgkmcnt(1)
	v_mul_f64 v[28:29], v[2:3], v[14:15]
	v_fma_f64 v[28:29], v[0:1], v[12:13], -v[28:29]
	v_mul_f64 v[0:1], v[0:1], v[14:15]
	v_fmac_f64_e32 v[0:1], v[2:3], v[12:13]
	v_add_f64 v[10:11], v[10:11], v[0:1]
	s_waitcnt lgkmcnt(0)
	v_mul_f64 v[0:1], v[6:7], v[26:27]
	v_mul_f64 v[14:15], v[4:5], v[26:27]
	v_fma_f64 v[12:13], v[4:5], v[24:25], -v[0:1]
	v_fmac_f64_e32 v[14:15], v[6:7], v[24:25]
	ds_read_b128 v[0:3], v34 offset:2048
	ds_read_b128 v[4:7], v32 offset:64
	v_add_f64 v[8:9], v[8:9], v[28:29]
	v_add_f64 v[24:25], v[8:9], v[12:13]
	;; [unrolled: 1-line block ×3, first 2 shown]
	ds_read_b128 v[8:11], v34 offset:2560
	ds_read_b128 v[12:15], v32 offset:80
	s_waitcnt lgkmcnt(2)
	v_mul_f64 v[28:29], v[2:3], v[6:7]
	v_fma_f64 v[28:29], v[0:1], v[4:5], -v[28:29]
	v_mul_f64 v[0:1], v[0:1], v[6:7]
	v_fmac_f64_e32 v[0:1], v[2:3], v[4:5]
	v_add_f64 v[26:27], v[26:27], v[0:1]
	s_waitcnt lgkmcnt(0)
	v_mul_f64 v[0:1], v[10:11], v[14:15]
	v_add_f64 v[24:25], v[24:25], v[28:29]
	v_fma_f64 v[28:29], v[8:9], v[12:13], -v[0:1]
	ds_read_b128 v[0:3], v34 offset:3072
	ds_read_b128 v[4:7], v32 offset:96
	v_mul_f64 v[8:9], v[8:9], v[14:15]
	v_fmac_f64_e32 v[8:9], v[10:11], v[12:13]
	v_add_f64 v[26:27], v[26:27], v[8:9]
	ds_read_b128 v[8:11], v34 offset:3584
	ds_read_b128 v[12:15], v32 offset:112
	v_add_f64 v[24:25], v[24:25], v[28:29]
	s_waitcnt lgkmcnt(2)
	v_mul_f64 v[28:29], v[2:3], v[6:7]
	v_fma_f64 v[28:29], v[0:1], v[4:5], -v[28:29]
	v_mul_f64 v[0:1], v[0:1], v[6:7]
	v_fmac_f64_e32 v[0:1], v[2:3], v[4:5]
	v_add_f64 v[26:27], v[26:27], v[0:1]
	s_waitcnt lgkmcnt(0)
	v_mul_f64 v[0:1], v[10:11], v[14:15]
	v_add_f64 v[24:25], v[24:25], v[28:29]
	v_fma_f64 v[28:29], v[8:9], v[12:13], -v[0:1]
	ds_read_b128 v[0:3], v34 offset:4096
	ds_read_b128 v[4:7], v32 offset:128
	v_mul_f64 v[8:9], v[8:9], v[14:15]
	v_fmac_f64_e32 v[8:9], v[10:11], v[12:13]
	v_add_f64 v[26:27], v[26:27], v[8:9]
	ds_read_b128 v[8:11], v34 offset:4608
	ds_read_b128 v[12:15], v32 offset:144
	v_add_f64 v[24:25], v[24:25], v[28:29]
	;; [unrolled: 18-line block ×8, first 2 shown]
	s_waitcnt lgkmcnt(2)
	v_mul_f64 v[28:29], v[2:3], v[6:7]
	v_fma_f64 v[28:29], v[0:1], v[4:5], -v[28:29]
	v_mul_f64 v[0:1], v[0:1], v[6:7]
	v_fmac_f64_e32 v[0:1], v[2:3], v[4:5]
	v_add_f64 v[26:27], v[26:27], v[0:1]
	s_waitcnt lgkmcnt(0)
	v_mul_f64 v[0:1], v[10:11], v[14:15]
	v_add_f64 v[24:25], v[24:25], v[28:29]
	v_fma_f64 v[28:29], v[8:9], v[12:13], -v[0:1]
	v_mul_f64 v[8:9], v[8:9], v[14:15]
	v_fmac_f64_e32 v[8:9], v[10:11], v[12:13]
	ds_read_b128 v[0:3], v34 offset:11264
	ds_read_b128 v[4:7], v32 offset:352
	v_add_f64 v[26:27], v[26:27], v[8:9]
	ds_read_b128 v[8:11], v34 offset:11776
	ds_read_b128 v[12:15], v32 offset:368
	global_load_dwordx4 v[36:39], v[22:23], off
	v_add_f64 v[24:25], v[24:25], v[28:29]
	s_waitcnt lgkmcnt(2)
	v_mul_f64 v[28:29], v[2:3], v[6:7]
	v_fma_f64 v[28:29], v[0:1], v[4:5], -v[28:29]
	v_mul_f64 v[0:1], v[0:1], v[6:7]
	v_fmac_f64_e32 v[0:1], v[2:3], v[4:5]
	v_add_f64 v[26:27], v[26:27], v[0:1]
	s_waitcnt lgkmcnt(0)
	v_mul_f64 v[0:1], v[10:11], v[14:15]
	v_add_f64 v[24:25], v[24:25], v[28:29]
	v_fma_f64 v[28:29], v[8:9], v[12:13], -v[0:1]
	ds_read_b128 v[0:3], v34 offset:12288
	ds_read_b128 v[4:7], v32 offset:384
	v_mul_f64 v[8:9], v[8:9], v[14:15]
	v_fmac_f64_e32 v[8:9], v[10:11], v[12:13]
	v_add_f64 v[26:27], v[26:27], v[8:9]
	ds_read_b128 v[8:11], v34 offset:12800
	ds_read_b128 v[12:15], v32 offset:400
	v_add_f64 v[24:25], v[24:25], v[28:29]
	s_waitcnt lgkmcnt(2)
	v_mul_f64 v[28:29], v[2:3], v[6:7]
	v_fma_f64 v[28:29], v[0:1], v[4:5], -v[28:29]
	v_mul_f64 v[0:1], v[0:1], v[6:7]
	v_fmac_f64_e32 v[0:1], v[2:3], v[4:5]
	v_add_f64 v[26:27], v[26:27], v[0:1]
	s_waitcnt lgkmcnt(0)
	v_mul_f64 v[0:1], v[10:11], v[14:15]
	v_add_f64 v[24:25], v[24:25], v[28:29]
	v_fma_f64 v[28:29], v[8:9], v[12:13], -v[0:1]
	ds_read_b128 v[0:3], v34 offset:13312
	ds_read_b128 v[4:7], v32 offset:416
	v_mul_f64 v[8:9], v[8:9], v[14:15]
	v_fmac_f64_e32 v[8:9], v[10:11], v[12:13]
	v_add_f64 v[26:27], v[26:27], v[8:9]
	ds_read_b128 v[8:11], v34 offset:13824
	ds_read_b128 v[12:15], v32 offset:432
	;; [unrolled: 18-line block ×3, first 2 shown]
	v_add_f64 v[24:25], v[24:25], v[28:29]
	s_waitcnt lgkmcnt(2)
	v_mul_f64 v[28:29], v[2:3], v[6:7]
	v_fma_f64 v[28:29], v[0:1], v[4:5], -v[28:29]
	v_mul_f64 v[0:1], v[0:1], v[6:7]
	v_fmac_f64_e32 v[0:1], v[2:3], v[4:5]
	v_add_f64 v[26:27], v[26:27], v[0:1]
	s_waitcnt lgkmcnt(0)
	v_mul_f64 v[0:1], v[10:11], v[14:15]
	v_add_f64 v[24:25], v[24:25], v[28:29]
	v_fma_f64 v[28:29], v[8:9], v[12:13], -v[0:1]
	v_mul_f64 v[8:9], v[8:9], v[14:15]
	ds_read_b128 v[0:3], v34 offset:15360
	ds_read_b128 v[4:7], v32 offset:480
	v_fmac_f64_e32 v[8:9], v[10:11], v[12:13]
	v_add_f64 v[26:27], v[26:27], v[8:9]
	ds_read_b128 v[8:11], v34 offset:15872
	ds_read_b128 v[12:15], v32 offset:496
	v_add_f64 v[24:25], v[24:25], v[28:29]
	s_waitcnt lgkmcnt(2)
	v_mul_f64 v[28:29], v[2:3], v[6:7]
	v_fma_f64 v[28:29], v[0:1], v[4:5], -v[28:29]
	v_mul_f64 v[0:1], v[0:1], v[6:7]
	v_fmac_f64_e32 v[0:1], v[2:3], v[4:5]
	s_waitcnt lgkmcnt(0)
	v_mul_f64 v[6:7], v[8:9], v[14:15]
	v_add_f64 v[0:1], v[26:27], v[0:1]
	v_mul_f64 v[4:5], v[10:11], v[14:15]
	v_fmac_f64_e32 v[6:7], v[10:11], v[12:13]
	v_add_f64 v[2:3], v[24:25], v[28:29]
	v_fma_f64 v[4:5], v[8:9], v[12:13], -v[4:5]
	v_add_f64 v[0:1], v[0:1], v[6:7]
	v_add_f64 v[2:3], v[2:3], v[4:5]
	v_mul_f64 v[4:5], s[38:39], v[0:1]
	v_fma_f64 v[4:5], s[36:37], v[2:3], -v[4:5]
	v_mul_f64 v[2:3], s[38:39], v[2:3]
	v_fmac_f64_e32 v[2:3], s[36:37], v[0:1]
	s_waitcnt vmcnt(0)
	v_add_f64 v[0:1], v[36:37], v[4:5]
	v_add_f64 v[2:3], v[38:39], v[2:3]
	global_store_dwordx4 v[22:23], v[0:3], off
	s_branch .LBB19_6
.LBB19_13:
	s_endpgm
	.section	.rodata,"a",@progbits
	.p2align	6, 0x0
	.amdhsa_kernel _ZL24rocblas_symm_hemm_kernelILb0ELb0ELi32EPK19rocblas_complex_numIdES3_PS1_EvbiiT2_T3_lllS6_lllT4_llli
		.amdhsa_group_segment_fixed_size 32768
		.amdhsa_private_segment_fixed_size 0
		.amdhsa_kernarg_size 384
		.amdhsa_user_sgpr_count 2
		.amdhsa_user_sgpr_dispatch_ptr 0
		.amdhsa_user_sgpr_queue_ptr 0
		.amdhsa_user_sgpr_kernarg_segment_ptr 1
		.amdhsa_user_sgpr_dispatch_id 0
		.amdhsa_user_sgpr_kernarg_preload_length 0
		.amdhsa_user_sgpr_kernarg_preload_offset 0
		.amdhsa_user_sgpr_private_segment_size 0
		.amdhsa_uses_dynamic_stack 0
		.amdhsa_enable_private_segment 0
		.amdhsa_system_sgpr_workgroup_id_x 1
		.amdhsa_system_sgpr_workgroup_id_y 1
		.amdhsa_system_sgpr_workgroup_id_z 1
		.amdhsa_system_sgpr_workgroup_info 0
		.amdhsa_system_vgpr_workitem_id 1
		.amdhsa_next_free_vgpr 40
		.amdhsa_next_free_sgpr 44
		.amdhsa_accum_offset 40
		.amdhsa_reserve_vcc 1
		.amdhsa_float_round_mode_32 0
		.amdhsa_float_round_mode_16_64 0
		.amdhsa_float_denorm_mode_32 3
		.amdhsa_float_denorm_mode_16_64 3
		.amdhsa_dx10_clamp 1
		.amdhsa_ieee_mode 1
		.amdhsa_fp16_overflow 0
		.amdhsa_tg_split 0
		.amdhsa_exception_fp_ieee_invalid_op 0
		.amdhsa_exception_fp_denorm_src 0
		.amdhsa_exception_fp_ieee_div_zero 0
		.amdhsa_exception_fp_ieee_overflow 0
		.amdhsa_exception_fp_ieee_underflow 0
		.amdhsa_exception_fp_ieee_inexact 0
		.amdhsa_exception_int_div_zero 0
	.end_amdhsa_kernel
	.section	.text._ZL24rocblas_symm_hemm_kernelILb0ELb0ELi32EPK19rocblas_complex_numIdES3_PS1_EvbiiT2_T3_lllS6_lllT4_llli,"axG",@progbits,_ZL24rocblas_symm_hemm_kernelILb0ELb0ELi32EPK19rocblas_complex_numIdES3_PS1_EvbiiT2_T3_lllS6_lllT4_llli,comdat
.Lfunc_end19:
	.size	_ZL24rocblas_symm_hemm_kernelILb0ELb0ELi32EPK19rocblas_complex_numIdES3_PS1_EvbiiT2_T3_lllS6_lllT4_llli, .Lfunc_end19-_ZL24rocblas_symm_hemm_kernelILb0ELb0ELi32EPK19rocblas_complex_numIdES3_PS1_EvbiiT2_T3_lllS6_lllT4_llli
                                        ; -- End function
	.set _ZL24rocblas_symm_hemm_kernelILb0ELb0ELi32EPK19rocblas_complex_numIdES3_PS1_EvbiiT2_T3_lllS6_lllT4_llli.num_vgpr, 40
	.set _ZL24rocblas_symm_hemm_kernelILb0ELb0ELi32EPK19rocblas_complex_numIdES3_PS1_EvbiiT2_T3_lllS6_lllT4_llli.num_agpr, 0
	.set _ZL24rocblas_symm_hemm_kernelILb0ELb0ELi32EPK19rocblas_complex_numIdES3_PS1_EvbiiT2_T3_lllS6_lllT4_llli.numbered_sgpr, 44
	.set _ZL24rocblas_symm_hemm_kernelILb0ELb0ELi32EPK19rocblas_complex_numIdES3_PS1_EvbiiT2_T3_lllS6_lllT4_llli.num_named_barrier, 0
	.set _ZL24rocblas_symm_hemm_kernelILb0ELb0ELi32EPK19rocblas_complex_numIdES3_PS1_EvbiiT2_T3_lllS6_lllT4_llli.private_seg_size, 0
	.set _ZL24rocblas_symm_hemm_kernelILb0ELb0ELi32EPK19rocblas_complex_numIdES3_PS1_EvbiiT2_T3_lllS6_lllT4_llli.uses_vcc, 1
	.set _ZL24rocblas_symm_hemm_kernelILb0ELb0ELi32EPK19rocblas_complex_numIdES3_PS1_EvbiiT2_T3_lllS6_lllT4_llli.uses_flat_scratch, 0
	.set _ZL24rocblas_symm_hemm_kernelILb0ELb0ELi32EPK19rocblas_complex_numIdES3_PS1_EvbiiT2_T3_lllS6_lllT4_llli.has_dyn_sized_stack, 0
	.set _ZL24rocblas_symm_hemm_kernelILb0ELb0ELi32EPK19rocblas_complex_numIdES3_PS1_EvbiiT2_T3_lllS6_lllT4_llli.has_recursion, 0
	.set _ZL24rocblas_symm_hemm_kernelILb0ELb0ELi32EPK19rocblas_complex_numIdES3_PS1_EvbiiT2_T3_lllS6_lllT4_llli.has_indirect_call, 0
	.section	.AMDGPU.csdata,"",@progbits
; Kernel info:
; codeLenInByte = 2852
; TotalNumSgprs: 50
; NumVgprs: 40
; NumAgprs: 0
; TotalNumVgprs: 40
; ScratchSize: 0
; MemoryBound: 1
; FloatMode: 240
; IeeeMode: 1
; LDSByteSize: 32768 bytes/workgroup (compile time only)
; SGPRBlocks: 6
; VGPRBlocks: 4
; NumSGPRsForWavesPerEU: 50
; NumVGPRsForWavesPerEU: 40
; AccumOffset: 40
; Occupancy: 8
; WaveLimiterHint : 0
; COMPUTE_PGM_RSRC2:SCRATCH_EN: 0
; COMPUTE_PGM_RSRC2:USER_SGPR: 2
; COMPUTE_PGM_RSRC2:TRAP_HANDLER: 0
; COMPUTE_PGM_RSRC2:TGID_X_EN: 1
; COMPUTE_PGM_RSRC2:TGID_Y_EN: 1
; COMPUTE_PGM_RSRC2:TGID_Z_EN: 1
; COMPUTE_PGM_RSRC2:TIDIG_COMP_CNT: 1
; COMPUTE_PGM_RSRC3_GFX90A:ACCUM_OFFSET: 9
; COMPUTE_PGM_RSRC3_GFX90A:TG_SPLIT: 0
	.section	.text._ZL24rocblas_symm_hemm_kernelILb0ELb1ELi32EPK19rocblas_complex_numIdES3_PS1_EvbiiT2_T3_lllS6_lllT4_llli,"axG",@progbits,_ZL24rocblas_symm_hemm_kernelILb0ELb1ELi32EPK19rocblas_complex_numIdES3_PS1_EvbiiT2_T3_lllS6_lllT4_llli,comdat
	.globl	_ZL24rocblas_symm_hemm_kernelILb0ELb1ELi32EPK19rocblas_complex_numIdES3_PS1_EvbiiT2_T3_lllS6_lllT4_llli ; -- Begin function _ZL24rocblas_symm_hemm_kernelILb0ELb1ELi32EPK19rocblas_complex_numIdES3_PS1_EvbiiT2_T3_lllS6_lllT4_llli
	.p2align	8
	.type	_ZL24rocblas_symm_hemm_kernelILb0ELb1ELi32EPK19rocblas_complex_numIdES3_PS1_EvbiiT2_T3_lllS6_lllT4_llli,@function
_ZL24rocblas_symm_hemm_kernelILb0ELb1ELi32EPK19rocblas_complex_numIdES3_PS1_EvbiiT2_T3_lllS6_lllT4_llli: ; @_ZL24rocblas_symm_hemm_kernelILb0ELb1ELi32EPK19rocblas_complex_numIdES3_PS1_EvbiiT2_T3_lllS6_lllT4_llli
; %bb.0:
	s_load_dwordx16 s[8:23], s[0:1], 0x10
	s_waitcnt lgkmcnt(0)
	s_load_dwordx4 s[36:39], s[8:9], 0x0
	s_waitcnt lgkmcnt(0)
	v_cmp_eq_f64_e64 s[6:7], s[36:37], 0
	v_cmp_eq_f64_e64 s[8:9], s[38:39], 0
	s_and_b64 s[6:7], s[6:7], s[8:9]
	s_and_b64 vcc, exec, s[6:7]
	s_cbranch_vccnz .LBB20_13
; %bb.1:
	s_load_dwordx4 s[40:43], s[0:1], 0x0
	s_waitcnt lgkmcnt(0)
	s_add_i32 s5, s42, -1
	s_ashr_i32 s6, s5, 31
	s_lshr_b32 s6, s6, 27
	s_add_i32 s5, s5, s6
	s_ashr_i32 s33, s5, 5
	s_cmp_gt_i32 s3, s33
	s_cbranch_scc1 .LBB20_13
; %bb.2:
	s_mul_i32 s5, s17, s4
	s_mul_hi_u32 s6, s16, s4
	s_add_i32 s7, s6, s5
	s_mul_i32 s6, s16, s4
	s_lshl_b64 s[6:7], s[6:7], 4
	s_add_u32 s5, s10, s6
	s_addc_u32 s9, s11, s7
	s_load_dwordx2 s[10:11], s[0:1], 0x70
	s_lshl_b64 s[6:7], s[12:13], 4
	s_add_u32 s8, s5, s6
	s_addc_u32 s9, s9, s7
	s_load_dwordx8 s[24:31], s[0:1], 0x50
	s_load_dword s16, s[0:1], 0x84
	s_bitcmp1_b32 s40, 0
	s_waitcnt lgkmcnt(0)
	s_mul_i32 s0, s11, s4
	s_mul_hi_u32 s1, s10, s4
	s_cselect_b64 s[6:7], -1, 0
	s_add_i32 s1, s1, s0
	s_mul_i32 s0, s10, s4
	s_lshl_b64 s[0:1], s[0:1], 4
	s_add_u32 s5, s26, s0
	s_addc_u32 s11, s27, s1
	s_lshl_b64 s[0:1], s[28:29], 4
	s_add_u32 s10, s5, s0
	s_addc_u32 s11, s11, s1
	s_mul_i32 s0, s25, s4
	s_mul_hi_u32 s1, s24, s4
	s_add_i32 s1, s1, s0
	s_mul_i32 s0, s24, s4
	s_lshl_b64 s[0:1], s[0:1], 4
	s_add_u32 s4, s18, s0
	s_addc_u32 s5, s19, s1
	s_lshl_b64 s[0:1], s[20:21], 4
	v_and_b32_e32 v28, 0x3ff, v0
	s_add_u32 s4, s4, s0
	v_lshl_add_u32 v2, s2, 5, v28
	s_addc_u32 s5, s5, s1
	v_ashrrev_i32_e32 v3, 31, v2
	v_bfe_u32 v29, v0, 10, 10
	s_cmp_gt_i32 s42, 0
	v_lshlrev_b64 v[0:1], 4, v[2:3]
	v_cmp_gt_i32_e64 s[0:1], s41, v2
	v_lshl_add_u64 v[16:17], s[4:5], 0, v[0:1]
	v_lshlrev_b32_e32 v2, 4, v29
	s_cselect_b64 s[4:5], -1, 0
	v_lshlrev_b32_e32 v30, 9, v28
	v_or_b32_e32 v32, 0x4000, v2
	v_lshl_add_u64 v[18:19], s[10:11], 0, v[0:1]
	v_cndmask_b32_e64 v0, 0, 1, s[4:5]
	v_add_u32_e32 v31, v30, v2
	v_add_u32_e32 v33, v32, v30
	v_cmp_ne_u32_e64 s[4:5], 1, v0
	s_branch .LBB20_4
.LBB20_3:                               ;   in Loop: Header=BB20_4 Depth=1
	s_add_i32 s3, s3, s16
	s_cmp_gt_i32 s3, s33
	s_cbranch_scc1 .LBB20_13
.LBB20_4:                               ; =>This Loop Header: Depth=1
                                        ;     Child Loop BB20_7 Depth 2
	s_and_b64 vcc, exec, s[4:5]
	s_cbranch_vccnz .LBB20_3
; %bb.5:                                ;   in Loop: Header=BB20_4 Depth=1
	v_lshl_add_u32 v34, s3, 5, v29
	v_ashrrev_i32_e32 v0, 31, v34
	v_mul_lo_u32 v2, s30, v0
	v_mul_lo_u32 v3, s31, v34
	v_mad_u64_u32 v[0:1], s[12:13], s30, v34, 0
	v_cmp_gt_i32_e32 vcc, s42, v34
	v_add3_u32 v1, v1, v2, v3
	s_and_b64 s[10:11], s[0:1], vcc
	v_lshl_add_u64 v[20:21], v[0:1], 4, v[18:19]
	s_mov_b32 s2, 0
	s_branch .LBB20_7
.LBB20_6:                               ;   in Loop: Header=BB20_7 Depth=2
	s_or_b64 exec, exec, s[12:13]
	s_add_i32 s2, s2, 32
	s_cmp_ge_i32 s2, s42
	s_barrier
	s_cbranch_scc1 .LBB20_3
.LBB20_7:                               ;   Parent Loop BB20_4 Depth=1
                                        ; =>  This Inner Loop Header: Depth=2
	v_add_u32_e32 v6, s2, v29
	v_cmp_gt_i32_e32 vcc, s42, v6
	s_and_b64 s[18:19], s[0:1], vcc
	v_mov_b64_e32 v[0:1], 0
	v_mov_b64_e32 v[2:3], 0
	;; [unrolled: 1-line block ×3, first 2 shown]
	s_and_saveexec_b64 s[12:13], s[18:19]
	s_cbranch_execz .LBB20_9
; %bb.8:                                ;   in Loop: Header=BB20_7 Depth=2
	v_ashrrev_i32_e32 v2, 31, v6
	v_mul_lo_u32 v4, s23, v6
	v_mul_lo_u32 v5, s22, v2
	v_mad_u64_u32 v[2:3], s[18:19], s22, v6, 0
	v_add3_u32 v3, v3, v5, v4
	v_lshl_add_u64 v[2:3], v[2:3], 4, v[16:17]
	global_load_dwordx4 v[2:5], v[2:3], off
.LBB20_9:                               ;   in Loop: Header=BB20_7 Depth=2
	s_or_b64 exec, exec, s[12:13]
	s_waitcnt vmcnt(0)
	ds_write_b128 v31, v[2:5]
	v_add_u32_e32 v2, s2, v28
	v_cndmask_b32_e64 v3, v34, v2, s[6:7]
	v_cndmask_b32_e64 v4, v2, v34, s[6:7]
	v_cmp_gt_i32_e32 vcc, v3, v4
	s_nop 1
	v_cndmask_b32_e32 v4, v2, v34, vcc
	v_cndmask_b32_e32 v5, v34, v2, vcc
	v_max_i32_e32 v2, v4, v5
	v_cmp_gt_i32_e32 vcc, s42, v2
	v_mov_b64_e32 v[2:3], 0
	s_and_saveexec_b64 s[12:13], vcc
	s_cbranch_execz .LBB20_11
; %bb.10:                               ;   in Loop: Header=BB20_7 Depth=2
	v_ashrrev_i32_e32 v0, 31, v5
	v_mul_lo_u32 v2, s15, v5
	v_mul_lo_u32 v3, s14, v0
	v_mad_u64_u32 v[0:1], s[18:19], s14, v5, 0
	v_add3_u32 v1, v1, v3, v2
	v_ashrrev_i32_e32 v5, 31, v4
	v_lshl_add_u64 v[0:1], v[0:1], 4, s[8:9]
	v_lshl_add_u64 v[0:1], v[4:5], 4, v[0:1]
	global_load_dwordx4 v[0:3], v[0:1], off
.LBB20_11:                              ;   in Loop: Header=BB20_7 Depth=2
	s_or_b64 exec, exec, s[12:13]
	s_waitcnt vmcnt(0)
	ds_write_b128 v33, v[0:3]
	s_waitcnt lgkmcnt(0)
	s_barrier
	s_and_saveexec_b64 s[12:13], s[10:11]
	s_cbranch_execz .LBB20_6
; %bb.12:                               ;   in Loop: Header=BB20_7 Depth=2
	ds_read_b128 v[0:3], v32
	ds_read_b128 v[4:7], v30
	ds_read_b128 v[8:11], v30 offset:16
	ds_read_b128 v[12:15], v30 offset:32
	;; [unrolled: 1-line block ×4, first 2 shown]
	s_waitcnt lgkmcnt(4)
	v_mul_f64 v[26:27], v[2:3], v[6:7]
	v_fma_f64 v[26:27], v[0:1], v[4:5], -v[26:27]
	v_mul_f64 v[0:1], v[0:1], v[6:7]
	v_fmac_f64_e32 v[0:1], v[2:3], v[4:5]
	v_add_f64 v[6:7], v[0:1], 0
	s_waitcnt lgkmcnt(0)
	v_mul_f64 v[0:1], v[38:39], v[10:11]
	v_add_f64 v[4:5], v[26:27], 0
	v_fma_f64 v[26:27], v[36:37], v[8:9], -v[0:1]
	ds_read_b128 v[0:3], v32 offset:1024
	v_mul_f64 v[10:11], v[36:37], v[10:11]
	v_fmac_f64_e32 v[10:11], v[38:39], v[8:9]
	v_add_f64 v[8:9], v[4:5], v[26:27]
	v_add_f64 v[10:11], v[6:7], v[10:11]
	ds_read_b128 v[4:7], v32 offset:1536
	s_waitcnt lgkmcnt(1)
	v_mul_f64 v[26:27], v[2:3], v[14:15]
	v_fma_f64 v[26:27], v[0:1], v[12:13], -v[26:27]
	v_mul_f64 v[0:1], v[0:1], v[14:15]
	v_fmac_f64_e32 v[0:1], v[2:3], v[12:13]
	v_add_f64 v[10:11], v[10:11], v[0:1]
	s_waitcnt lgkmcnt(0)
	v_mul_f64 v[0:1], v[6:7], v[24:25]
	v_mul_f64 v[14:15], v[4:5], v[24:25]
	v_fma_f64 v[12:13], v[4:5], v[22:23], -v[0:1]
	v_fmac_f64_e32 v[14:15], v[6:7], v[22:23]
	ds_read_b128 v[0:3], v32 offset:2048
	ds_read_b128 v[4:7], v30 offset:64
	v_add_f64 v[8:9], v[8:9], v[26:27]
	v_add_f64 v[22:23], v[8:9], v[12:13]
	;; [unrolled: 1-line block ×3, first 2 shown]
	ds_read_b128 v[8:11], v32 offset:2560
	ds_read_b128 v[12:15], v30 offset:80
	s_waitcnt lgkmcnt(2)
	v_mul_f64 v[26:27], v[2:3], v[6:7]
	v_fma_f64 v[26:27], v[0:1], v[4:5], -v[26:27]
	v_mul_f64 v[0:1], v[0:1], v[6:7]
	v_fmac_f64_e32 v[0:1], v[2:3], v[4:5]
	v_add_f64 v[24:25], v[24:25], v[0:1]
	s_waitcnt lgkmcnt(0)
	v_mul_f64 v[0:1], v[10:11], v[14:15]
	v_add_f64 v[22:23], v[22:23], v[26:27]
	v_fma_f64 v[26:27], v[8:9], v[12:13], -v[0:1]
	ds_read_b128 v[0:3], v32 offset:3072
	ds_read_b128 v[4:7], v30 offset:96
	v_mul_f64 v[8:9], v[8:9], v[14:15]
	v_fmac_f64_e32 v[8:9], v[10:11], v[12:13]
	v_add_f64 v[24:25], v[24:25], v[8:9]
	ds_read_b128 v[8:11], v32 offset:3584
	ds_read_b128 v[12:15], v30 offset:112
	v_add_f64 v[22:23], v[22:23], v[26:27]
	s_waitcnt lgkmcnt(2)
	v_mul_f64 v[26:27], v[2:3], v[6:7]
	v_fma_f64 v[26:27], v[0:1], v[4:5], -v[26:27]
	v_mul_f64 v[0:1], v[0:1], v[6:7]
	v_fmac_f64_e32 v[0:1], v[2:3], v[4:5]
	v_add_f64 v[24:25], v[24:25], v[0:1]
	s_waitcnt lgkmcnt(0)
	v_mul_f64 v[0:1], v[10:11], v[14:15]
	v_add_f64 v[22:23], v[22:23], v[26:27]
	v_fma_f64 v[26:27], v[8:9], v[12:13], -v[0:1]
	ds_read_b128 v[0:3], v32 offset:4096
	ds_read_b128 v[4:7], v30 offset:128
	v_mul_f64 v[8:9], v[8:9], v[14:15]
	v_fmac_f64_e32 v[8:9], v[10:11], v[12:13]
	v_add_f64 v[24:25], v[24:25], v[8:9]
	ds_read_b128 v[8:11], v32 offset:4608
	ds_read_b128 v[12:15], v30 offset:144
	v_add_f64 v[22:23], v[22:23], v[26:27]
	;; [unrolled: 18-line block ×8, first 2 shown]
	s_waitcnt lgkmcnt(2)
	v_mul_f64 v[26:27], v[2:3], v[6:7]
	v_fma_f64 v[26:27], v[0:1], v[4:5], -v[26:27]
	v_mul_f64 v[0:1], v[0:1], v[6:7]
	v_fmac_f64_e32 v[0:1], v[2:3], v[4:5]
	v_add_f64 v[24:25], v[24:25], v[0:1]
	s_waitcnt lgkmcnt(0)
	v_mul_f64 v[0:1], v[10:11], v[14:15]
	v_add_f64 v[22:23], v[22:23], v[26:27]
	v_fma_f64 v[26:27], v[8:9], v[12:13], -v[0:1]
	v_mul_f64 v[8:9], v[8:9], v[14:15]
	v_fmac_f64_e32 v[8:9], v[10:11], v[12:13]
	ds_read_b128 v[0:3], v32 offset:11264
	ds_read_b128 v[4:7], v30 offset:352
	v_add_f64 v[24:25], v[24:25], v[8:9]
	ds_read_b128 v[8:11], v32 offset:11776
	ds_read_b128 v[12:15], v30 offset:368
	global_load_dwordx4 v[36:39], v[20:21], off
	v_add_f64 v[22:23], v[22:23], v[26:27]
	s_waitcnt lgkmcnt(2)
	v_mul_f64 v[26:27], v[2:3], v[6:7]
	v_fma_f64 v[26:27], v[0:1], v[4:5], -v[26:27]
	v_mul_f64 v[0:1], v[0:1], v[6:7]
	v_fmac_f64_e32 v[0:1], v[2:3], v[4:5]
	v_add_f64 v[24:25], v[24:25], v[0:1]
	s_waitcnt lgkmcnt(0)
	v_mul_f64 v[0:1], v[10:11], v[14:15]
	v_add_f64 v[22:23], v[22:23], v[26:27]
	v_fma_f64 v[26:27], v[8:9], v[12:13], -v[0:1]
	ds_read_b128 v[0:3], v32 offset:12288
	ds_read_b128 v[4:7], v30 offset:384
	v_mul_f64 v[8:9], v[8:9], v[14:15]
	v_fmac_f64_e32 v[8:9], v[10:11], v[12:13]
	v_add_f64 v[24:25], v[24:25], v[8:9]
	ds_read_b128 v[8:11], v32 offset:12800
	ds_read_b128 v[12:15], v30 offset:400
	v_add_f64 v[22:23], v[22:23], v[26:27]
	s_waitcnt lgkmcnt(2)
	v_mul_f64 v[26:27], v[2:3], v[6:7]
	v_fma_f64 v[26:27], v[0:1], v[4:5], -v[26:27]
	v_mul_f64 v[0:1], v[0:1], v[6:7]
	v_fmac_f64_e32 v[0:1], v[2:3], v[4:5]
	v_add_f64 v[24:25], v[24:25], v[0:1]
	s_waitcnt lgkmcnt(0)
	v_mul_f64 v[0:1], v[10:11], v[14:15]
	v_add_f64 v[22:23], v[22:23], v[26:27]
	v_fma_f64 v[26:27], v[8:9], v[12:13], -v[0:1]
	ds_read_b128 v[0:3], v32 offset:13312
	ds_read_b128 v[4:7], v30 offset:416
	v_mul_f64 v[8:9], v[8:9], v[14:15]
	v_fmac_f64_e32 v[8:9], v[10:11], v[12:13]
	v_add_f64 v[24:25], v[24:25], v[8:9]
	ds_read_b128 v[8:11], v32 offset:13824
	ds_read_b128 v[12:15], v30 offset:432
	;; [unrolled: 18-line block ×3, first 2 shown]
	v_add_f64 v[22:23], v[22:23], v[26:27]
	s_waitcnt lgkmcnt(2)
	v_mul_f64 v[26:27], v[2:3], v[6:7]
	v_fma_f64 v[26:27], v[0:1], v[4:5], -v[26:27]
	v_mul_f64 v[0:1], v[0:1], v[6:7]
	v_fmac_f64_e32 v[0:1], v[2:3], v[4:5]
	v_add_f64 v[24:25], v[24:25], v[0:1]
	s_waitcnt lgkmcnt(0)
	v_mul_f64 v[0:1], v[10:11], v[14:15]
	v_add_f64 v[22:23], v[22:23], v[26:27]
	v_fma_f64 v[26:27], v[8:9], v[12:13], -v[0:1]
	v_mul_f64 v[8:9], v[8:9], v[14:15]
	ds_read_b128 v[0:3], v32 offset:15360
	ds_read_b128 v[4:7], v30 offset:480
	v_fmac_f64_e32 v[8:9], v[10:11], v[12:13]
	v_add_f64 v[24:25], v[24:25], v[8:9]
	ds_read_b128 v[8:11], v32 offset:15872
	ds_read_b128 v[12:15], v30 offset:496
	v_add_f64 v[22:23], v[22:23], v[26:27]
	s_waitcnt lgkmcnt(2)
	v_mul_f64 v[26:27], v[2:3], v[6:7]
	v_fma_f64 v[26:27], v[0:1], v[4:5], -v[26:27]
	v_mul_f64 v[0:1], v[0:1], v[6:7]
	v_fmac_f64_e32 v[0:1], v[2:3], v[4:5]
	s_waitcnt lgkmcnt(0)
	v_mul_f64 v[6:7], v[8:9], v[14:15]
	v_add_f64 v[0:1], v[24:25], v[0:1]
	v_mul_f64 v[4:5], v[10:11], v[14:15]
	v_fmac_f64_e32 v[6:7], v[10:11], v[12:13]
	v_add_f64 v[2:3], v[22:23], v[26:27]
	v_fma_f64 v[4:5], v[8:9], v[12:13], -v[4:5]
	v_add_f64 v[0:1], v[0:1], v[6:7]
	v_add_f64 v[2:3], v[2:3], v[4:5]
	v_mul_f64 v[4:5], s[38:39], v[0:1]
	v_fma_f64 v[4:5], s[36:37], v[2:3], -v[4:5]
	v_mul_f64 v[2:3], s[38:39], v[2:3]
	v_fmac_f64_e32 v[2:3], s[36:37], v[0:1]
	s_waitcnt vmcnt(0)
	v_add_f64 v[0:1], v[36:37], v[4:5]
	v_add_f64 v[2:3], v[38:39], v[2:3]
	global_store_dwordx4 v[20:21], v[0:3], off
	s_branch .LBB20_6
.LBB20_13:
	s_endpgm
	.section	.rodata,"a",@progbits
	.p2align	6, 0x0
	.amdhsa_kernel _ZL24rocblas_symm_hemm_kernelILb0ELb1ELi32EPK19rocblas_complex_numIdES3_PS1_EvbiiT2_T3_lllS6_lllT4_llli
		.amdhsa_group_segment_fixed_size 32768
		.amdhsa_private_segment_fixed_size 0
		.amdhsa_kernarg_size 384
		.amdhsa_user_sgpr_count 2
		.amdhsa_user_sgpr_dispatch_ptr 0
		.amdhsa_user_sgpr_queue_ptr 0
		.amdhsa_user_sgpr_kernarg_segment_ptr 1
		.amdhsa_user_sgpr_dispatch_id 0
		.amdhsa_user_sgpr_kernarg_preload_length 0
		.amdhsa_user_sgpr_kernarg_preload_offset 0
		.amdhsa_user_sgpr_private_segment_size 0
		.amdhsa_uses_dynamic_stack 0
		.amdhsa_enable_private_segment 0
		.amdhsa_system_sgpr_workgroup_id_x 1
		.amdhsa_system_sgpr_workgroup_id_y 1
		.amdhsa_system_sgpr_workgroup_id_z 1
		.amdhsa_system_sgpr_workgroup_info 0
		.amdhsa_system_vgpr_workitem_id 1
		.amdhsa_next_free_vgpr 40
		.amdhsa_next_free_sgpr 44
		.amdhsa_accum_offset 40
		.amdhsa_reserve_vcc 1
		.amdhsa_float_round_mode_32 0
		.amdhsa_float_round_mode_16_64 0
		.amdhsa_float_denorm_mode_32 3
		.amdhsa_float_denorm_mode_16_64 3
		.amdhsa_dx10_clamp 1
		.amdhsa_ieee_mode 1
		.amdhsa_fp16_overflow 0
		.amdhsa_tg_split 0
		.amdhsa_exception_fp_ieee_invalid_op 0
		.amdhsa_exception_fp_denorm_src 0
		.amdhsa_exception_fp_ieee_div_zero 0
		.amdhsa_exception_fp_ieee_overflow 0
		.amdhsa_exception_fp_ieee_underflow 0
		.amdhsa_exception_fp_ieee_inexact 0
		.amdhsa_exception_int_div_zero 0
	.end_amdhsa_kernel
	.section	.text._ZL24rocblas_symm_hemm_kernelILb0ELb1ELi32EPK19rocblas_complex_numIdES3_PS1_EvbiiT2_T3_lllS6_lllT4_llli,"axG",@progbits,_ZL24rocblas_symm_hemm_kernelILb0ELb1ELi32EPK19rocblas_complex_numIdES3_PS1_EvbiiT2_T3_lllS6_lllT4_llli,comdat
.Lfunc_end20:
	.size	_ZL24rocblas_symm_hemm_kernelILb0ELb1ELi32EPK19rocblas_complex_numIdES3_PS1_EvbiiT2_T3_lllS6_lllT4_llli, .Lfunc_end20-_ZL24rocblas_symm_hemm_kernelILb0ELb1ELi32EPK19rocblas_complex_numIdES3_PS1_EvbiiT2_T3_lllS6_lllT4_llli
                                        ; -- End function
	.set _ZL24rocblas_symm_hemm_kernelILb0ELb1ELi32EPK19rocblas_complex_numIdES3_PS1_EvbiiT2_T3_lllS6_lllT4_llli.num_vgpr, 40
	.set _ZL24rocblas_symm_hemm_kernelILb0ELb1ELi32EPK19rocblas_complex_numIdES3_PS1_EvbiiT2_T3_lllS6_lllT4_llli.num_agpr, 0
	.set _ZL24rocblas_symm_hemm_kernelILb0ELb1ELi32EPK19rocblas_complex_numIdES3_PS1_EvbiiT2_T3_lllS6_lllT4_llli.numbered_sgpr, 44
	.set _ZL24rocblas_symm_hemm_kernelILb0ELb1ELi32EPK19rocblas_complex_numIdES3_PS1_EvbiiT2_T3_lllS6_lllT4_llli.num_named_barrier, 0
	.set _ZL24rocblas_symm_hemm_kernelILb0ELb1ELi32EPK19rocblas_complex_numIdES3_PS1_EvbiiT2_T3_lllS6_lllT4_llli.private_seg_size, 0
	.set _ZL24rocblas_symm_hemm_kernelILb0ELb1ELi32EPK19rocblas_complex_numIdES3_PS1_EvbiiT2_T3_lllS6_lllT4_llli.uses_vcc, 1
	.set _ZL24rocblas_symm_hemm_kernelILb0ELb1ELi32EPK19rocblas_complex_numIdES3_PS1_EvbiiT2_T3_lllS6_lllT4_llli.uses_flat_scratch, 0
	.set _ZL24rocblas_symm_hemm_kernelILb0ELb1ELi32EPK19rocblas_complex_numIdES3_PS1_EvbiiT2_T3_lllS6_lllT4_llli.has_dyn_sized_stack, 0
	.set _ZL24rocblas_symm_hemm_kernelILb0ELb1ELi32EPK19rocblas_complex_numIdES3_PS1_EvbiiT2_T3_lllS6_lllT4_llli.has_recursion, 0
	.set _ZL24rocblas_symm_hemm_kernelILb0ELb1ELi32EPK19rocblas_complex_numIdES3_PS1_EvbiiT2_T3_lllS6_lllT4_llli.has_indirect_call, 0
	.section	.AMDGPU.csdata,"",@progbits
; Kernel info:
; codeLenInByte = 2840
; TotalNumSgprs: 50
; NumVgprs: 40
; NumAgprs: 0
; TotalNumVgprs: 40
; ScratchSize: 0
; MemoryBound: 1
; FloatMode: 240
; IeeeMode: 1
; LDSByteSize: 32768 bytes/workgroup (compile time only)
; SGPRBlocks: 6
; VGPRBlocks: 4
; NumSGPRsForWavesPerEU: 50
; NumVGPRsForWavesPerEU: 40
; AccumOffset: 40
; Occupancy: 8
; WaveLimiterHint : 0
; COMPUTE_PGM_RSRC2:SCRATCH_EN: 0
; COMPUTE_PGM_RSRC2:USER_SGPR: 2
; COMPUTE_PGM_RSRC2:TRAP_HANDLER: 0
; COMPUTE_PGM_RSRC2:TGID_X_EN: 1
; COMPUTE_PGM_RSRC2:TGID_Y_EN: 1
; COMPUTE_PGM_RSRC2:TGID_Z_EN: 1
; COMPUTE_PGM_RSRC2:TIDIG_COMP_CNT: 1
; COMPUTE_PGM_RSRC3_GFX90A:ACCUM_OFFSET: 9
; COMPUTE_PGM_RSRC3_GFX90A:TG_SPLIT: 0
	.section	.text._ZL25rocblas_symm_scale_kernelILi128ELi8E19rocblas_complex_numIdEPS1_EviiT1_T2_llli,"axG",@progbits,_ZL25rocblas_symm_scale_kernelILi128ELi8E19rocblas_complex_numIdEPS1_EviiT1_T2_llli,comdat
	.globl	_ZL25rocblas_symm_scale_kernelILi128ELi8E19rocblas_complex_numIdEPS1_EviiT1_T2_llli ; -- Begin function _ZL25rocblas_symm_scale_kernelILi128ELi8E19rocblas_complex_numIdEPS1_EviiT1_T2_llli
	.p2align	8
	.type	_ZL25rocblas_symm_scale_kernelILi128ELi8E19rocblas_complex_numIdEPS1_EviiT1_T2_llli,@function
_ZL25rocblas_symm_scale_kernelILi128ELi8E19rocblas_complex_numIdEPS1_EviiT1_T2_llli: ; @_ZL25rocblas_symm_scale_kernelILi128ELi8E19rocblas_complex_numIdEPS1_EviiT1_T2_llli
; %bb.0:
	s_load_dwordx8 s[8:15], s[0:1], 0x8
	s_waitcnt lgkmcnt(0)
	v_cmp_eq_f64_e64 s[6:7], s[8:9], 1.0
	v_cmp_eq_f64_e64 s[16:17], s[10:11], 0
	s_and_b64 s[6:7], s[6:7], s[16:17]
	s_and_b64 vcc, exec, s[6:7]
	s_cbranch_vccnz .LBB21_6
; %bb.1:
	s_load_dwordx2 s[16:17], s[0:1], 0x0
	v_and_b32_e32 v1, 0x3ff, v0
	v_bfe_u32 v0, v0, 10, 10
	v_lshl_add_u32 v2, s2, 7, v1
	v_lshl_add_u32 v4, s3, 3, v0
	v_mov_b32_e32 v5, 0
	s_waitcnt lgkmcnt(0)
	s_ashr_i32 s7, s17, 31
	s_mov_b32 s6, s17
	v_cmp_gt_u32_e32 vcc, s16, v2
	v_cmp_gt_i64_e64 s[2:3], s[6:7], v[4:5]
	s_and_b64 s[2:3], vcc, s[2:3]
	s_and_saveexec_b64 s[16:17], s[2:3]
	s_cbranch_execz .LBB21_6
; %bb.2:
	s_load_dwordx4 s[20:23], s[0:1], 0x28
	s_load_dword s5, s[0:1], 0x44
	v_cmp_neq_f64_e64 s[16:17], s[8:9], 0
	v_cmp_neq_f64_e64 s[0:1], s[10:11], 0
	s_or_b64 s[0:1], s[16:17], s[0:1]
	s_waitcnt lgkmcnt(0)
	s_mul_hi_u32 s18, s22, s4
	s_lshl_b32 s16, s5, 3
	s_mul_i32 s5, s23, s4
	s_add_i32 s5, s18, s5
	s_mul_i32 s4, s22, s4
	v_mad_u64_u32 v[0:1], s[18:19], s20, v4, 0
	s_lshl_b64 s[4:5], s[4:5], 4
	v_mov_b32_e32 v6, v1
	s_lshl_b64 s[14:15], s[14:15], 4
	v_mad_u64_u32 v[6:7], s[18:19], s21, v4, v[6:7]
	s_add_u32 s4, s14, s4
	v_mov_b32_e32 v1, v6
	s_addc_u32 s5, s15, s5
	v_mov_b32_e32 v3, v5
	v_lshl_add_u64 v[0:1], v[0:1], 4, s[4:5]
	v_lshl_add_u64 v[0:1], v[2:3], 4, v[0:1]
	;; [unrolled: 1-line block ×3, first 2 shown]
	s_mul_i32 s4, s21, s16
	s_mul_hi_u32 s5, s20, s16
	v_lshl_add_u64 v[6:7], v[0:1], 0, 8
	s_add_i32 s5, s5, s4
	s_mul_i32 s4, s20, s16
	v_cndmask_b32_e64 v0, 0, 1, s[0:1]
	s_mov_b64 s[2:3], 0
	s_mov_b32 s17, 0
	s_lshl_b64 s[4:5], s[4:5], 4
	v_cmp_ne_u32_e64 s[0:1], 1, v0
	s_branch .LBB21_4
.LBB21_3:                               ;   in Loop: Header=BB21_4 Depth=1
	v_lshl_add_u64 v[4:5], v[4:5], 0, s[16:17]
	v_cmp_le_i64_e32 vcc, s[6:7], v[4:5]
	global_store_dwordx4 v[6:7], v[0:3], off offset:-8
	s_or_b64 s[2:3], vcc, s[2:3]
	v_lshl_add_u64 v[6:7], v[6:7], 0, s[4:5]
	s_andn2_b64 exec, exec, s[2:3]
	s_cbranch_execz .LBB21_6
.LBB21_4:                               ; =>This Inner Loop Header: Depth=1
	v_mov_b64_e32 v[2:3], 0
	s_and_b64 vcc, exec, s[0:1]
	v_mov_b64_e32 v[0:1], 0
	s_cbranch_vccnz .LBB21_3
; %bb.5:                                ;   in Loop: Header=BB21_4 Depth=1
	global_load_dwordx4 v[8:11], v[6:7], off offset:-8
	s_waitcnt vmcnt(0)
	v_mul_f64 v[0:1], s[10:11], v[10:11]
	v_mul_f64 v[2:3], s[8:9], v[10:11]
	v_fma_f64 v[0:1], s[8:9], v[8:9], -v[0:1]
	v_fmac_f64_e32 v[2:3], s[10:11], v[8:9]
	s_branch .LBB21_3
.LBB21_6:
	s_endpgm
	.section	.rodata,"a",@progbits
	.p2align	6, 0x0
	.amdhsa_kernel _ZL25rocblas_symm_scale_kernelILi128ELi8E19rocblas_complex_numIdEPS1_EviiT1_T2_llli
		.amdhsa_group_segment_fixed_size 0
		.amdhsa_private_segment_fixed_size 0
		.amdhsa_kernarg_size 320
		.amdhsa_user_sgpr_count 2
		.amdhsa_user_sgpr_dispatch_ptr 0
		.amdhsa_user_sgpr_queue_ptr 0
		.amdhsa_user_sgpr_kernarg_segment_ptr 1
		.amdhsa_user_sgpr_dispatch_id 0
		.amdhsa_user_sgpr_kernarg_preload_length 0
		.amdhsa_user_sgpr_kernarg_preload_offset 0
		.amdhsa_user_sgpr_private_segment_size 0
		.amdhsa_uses_dynamic_stack 0
		.amdhsa_enable_private_segment 0
		.amdhsa_system_sgpr_workgroup_id_x 1
		.amdhsa_system_sgpr_workgroup_id_y 1
		.amdhsa_system_sgpr_workgroup_id_z 1
		.amdhsa_system_sgpr_workgroup_info 0
		.amdhsa_system_vgpr_workitem_id 1
		.amdhsa_next_free_vgpr 12
		.amdhsa_next_free_sgpr 24
		.amdhsa_accum_offset 12
		.amdhsa_reserve_vcc 1
		.amdhsa_float_round_mode_32 0
		.amdhsa_float_round_mode_16_64 0
		.amdhsa_float_denorm_mode_32 3
		.amdhsa_float_denorm_mode_16_64 3
		.amdhsa_dx10_clamp 1
		.amdhsa_ieee_mode 1
		.amdhsa_fp16_overflow 0
		.amdhsa_tg_split 0
		.amdhsa_exception_fp_ieee_invalid_op 0
		.amdhsa_exception_fp_denorm_src 0
		.amdhsa_exception_fp_ieee_div_zero 0
		.amdhsa_exception_fp_ieee_overflow 0
		.amdhsa_exception_fp_ieee_underflow 0
		.amdhsa_exception_fp_ieee_inexact 0
		.amdhsa_exception_int_div_zero 0
	.end_amdhsa_kernel
	.section	.text._ZL25rocblas_symm_scale_kernelILi128ELi8E19rocblas_complex_numIdEPS1_EviiT1_T2_llli,"axG",@progbits,_ZL25rocblas_symm_scale_kernelILi128ELi8E19rocblas_complex_numIdEPS1_EviiT1_T2_llli,comdat
.Lfunc_end21:
	.size	_ZL25rocblas_symm_scale_kernelILi128ELi8E19rocblas_complex_numIdEPS1_EviiT1_T2_llli, .Lfunc_end21-_ZL25rocblas_symm_scale_kernelILi128ELi8E19rocblas_complex_numIdEPS1_EviiT1_T2_llli
                                        ; -- End function
	.set _ZL25rocblas_symm_scale_kernelILi128ELi8E19rocblas_complex_numIdEPS1_EviiT1_T2_llli.num_vgpr, 12
	.set _ZL25rocblas_symm_scale_kernelILi128ELi8E19rocblas_complex_numIdEPS1_EviiT1_T2_llli.num_agpr, 0
	.set _ZL25rocblas_symm_scale_kernelILi128ELi8E19rocblas_complex_numIdEPS1_EviiT1_T2_llli.numbered_sgpr, 24
	.set _ZL25rocblas_symm_scale_kernelILi128ELi8E19rocblas_complex_numIdEPS1_EviiT1_T2_llli.num_named_barrier, 0
	.set _ZL25rocblas_symm_scale_kernelILi128ELi8E19rocblas_complex_numIdEPS1_EviiT1_T2_llli.private_seg_size, 0
	.set _ZL25rocblas_symm_scale_kernelILi128ELi8E19rocblas_complex_numIdEPS1_EviiT1_T2_llli.uses_vcc, 1
	.set _ZL25rocblas_symm_scale_kernelILi128ELi8E19rocblas_complex_numIdEPS1_EviiT1_T2_llli.uses_flat_scratch, 0
	.set _ZL25rocblas_symm_scale_kernelILi128ELi8E19rocblas_complex_numIdEPS1_EviiT1_T2_llli.has_dyn_sized_stack, 0
	.set _ZL25rocblas_symm_scale_kernelILi128ELi8E19rocblas_complex_numIdEPS1_EviiT1_T2_llli.has_recursion, 0
	.set _ZL25rocblas_symm_scale_kernelILi128ELi8E19rocblas_complex_numIdEPS1_EviiT1_T2_llli.has_indirect_call, 0
	.section	.AMDGPU.csdata,"",@progbits
; Kernel info:
; codeLenInByte = 408
; TotalNumSgprs: 30
; NumVgprs: 12
; NumAgprs: 0
; TotalNumVgprs: 12
; ScratchSize: 0
; MemoryBound: 0
; FloatMode: 240
; IeeeMode: 1
; LDSByteSize: 0 bytes/workgroup (compile time only)
; SGPRBlocks: 3
; VGPRBlocks: 1
; NumSGPRsForWavesPerEU: 30
; NumVGPRsForWavesPerEU: 12
; AccumOffset: 12
; Occupancy: 8
; WaveLimiterHint : 0
; COMPUTE_PGM_RSRC2:SCRATCH_EN: 0
; COMPUTE_PGM_RSRC2:USER_SGPR: 2
; COMPUTE_PGM_RSRC2:TRAP_HANDLER: 0
; COMPUTE_PGM_RSRC2:TGID_X_EN: 1
; COMPUTE_PGM_RSRC2:TGID_Y_EN: 1
; COMPUTE_PGM_RSRC2:TGID_Z_EN: 1
; COMPUTE_PGM_RSRC2:TIDIG_COMP_CNT: 1
; COMPUTE_PGM_RSRC3_GFX90A:ACCUM_OFFSET: 2
; COMPUTE_PGM_RSRC3_GFX90A:TG_SPLIT: 0
	.section	.text._ZL24rocblas_symm_hemm_kernelILb0ELb0ELi32E19rocblas_complex_numIdEPKS1_PS1_EvbiiT2_T3_lllS6_lllT4_llli,"axG",@progbits,_ZL24rocblas_symm_hemm_kernelILb0ELb0ELi32E19rocblas_complex_numIdEPKS1_PS1_EvbiiT2_T3_lllS6_lllT4_llli,comdat
	.globl	_ZL24rocblas_symm_hemm_kernelILb0ELb0ELi32E19rocblas_complex_numIdEPKS1_PS1_EvbiiT2_T3_lllS6_lllT4_llli ; -- Begin function _ZL24rocblas_symm_hemm_kernelILb0ELb0ELi32E19rocblas_complex_numIdEPKS1_PS1_EvbiiT2_T3_lllS6_lllT4_llli
	.p2align	8
	.type	_ZL24rocblas_symm_hemm_kernelILb0ELb0ELi32E19rocblas_complex_numIdEPKS1_PS1_EvbiiT2_T3_lllS6_lllT4_llli,@function
_ZL24rocblas_symm_hemm_kernelILb0ELb0ELi32E19rocblas_complex_numIdEPKS1_PS1_EvbiiT2_T3_lllS6_lllT4_llli: ; @_ZL24rocblas_symm_hemm_kernelILb0ELb0ELi32E19rocblas_complex_numIdEPKS1_PS1_EvbiiT2_T3_lllS6_lllT4_llli
; %bb.0:
	s_load_dwordx16 s[12:27], s[0:1], 0x10
	s_waitcnt lgkmcnt(0)
	v_cmp_eq_f64_e64 s[6:7], s[12:13], 0
	v_cmp_eq_f64_e64 s[8:9], s[14:15], 0
	s_and_b64 s[6:7], s[6:7], s[8:9]
	s_and_b64 vcc, exec, s[6:7]
	s_cbranch_vccnz .LBB22_13
; %bb.1:
	s_load_dwordx4 s[28:31], s[0:1], 0x0
	s_waitcnt lgkmcnt(0)
	s_add_i32 s5, s30, -1
	s_ashr_i32 s6, s5, 31
	s_lshr_b32 s6, s6, 27
	s_add_i32 s5, s5, s6
	s_ashr_i32 s31, s5, 5
	s_cmp_gt_i32 s3, s31
	s_cbranch_scc1 .LBB22_13
; %bb.2:
	s_mul_i32 s5, s23, s4
	s_mul_hi_u32 s6, s22, s4
	s_load_dwordx8 s[36:43], s[0:1], 0x50
	s_load_dwordx4 s[44:47], s[0:1], 0x70
	s_add_i32 s7, s6, s5
	s_mul_i32 s6, s22, s4
	s_lshl_b64 s[6:7], s[6:7], 4
	s_add_u32 s5, s16, s6
	s_addc_u32 s8, s17, s7
	s_lshl_b64 s[6:7], s[18:19], 4
	s_add_u32 s10, s5, s6
	s_waitcnt lgkmcnt(0)
	s_mul_i32 s5, s39, s4
	s_mul_hi_u32 s6, s38, s4
	s_addc_u32 s11, s8, s7
	s_add_i32 s7, s6, s5
	s_mul_i32 s6, s38, s4
	s_lshl_b64 s[6:7], s[6:7], 4
	s_add_u32 s5, s24, s6
	s_addc_u32 s8, s25, s7
	s_lshl_b64 s[6:7], s[26:27], 4
	s_add_u32 s16, s5, s6
	s_addc_u32 s17, s8, s7
	s_bitcmp1_b32 s28, 0
	s_load_dword s24, s[0:1], 0x8c
	s_mul_i32 s0, s47, s4
	s_mul_hi_u32 s1, s46, s4
	s_cselect_b64 s[6:7], -1, 0
	s_add_i32 s1, s1, s0
	s_mul_i32 s0, s46, s4
	s_lshl_b64 s[0:1], s[0:1], 4
	s_add_u32 s4, s40, s0
	s_addc_u32 s5, s41, s1
	s_lshl_b64 s[0:1], s[42:43], 4
	s_add_u32 s4, s4, s0
	v_and_b32_e32 v30, 0x3ff, v0
	s_addc_u32 s5, s5, s1
	v_lshl_add_u32 v16, s2, 5, v30
	v_bfe_u32 v31, v0, 10, 10
	s_cmp_gt_i32 s29, 0
	v_ashrrev_i32_e32 v17, 31, v16
	v_lshlrev_b32_e32 v32, 9, v30
	v_lshlrev_b32_e32 v0, 4, v31
	v_lshl_add_u64 v[18:19], v[16:17], 4, s[4:5]
	s_cselect_b64 s[4:5], -1, 0
	v_add_u32_e32 v33, v32, v0
	v_or_b32_e32 v34, 0x4000, v0
	v_cndmask_b32_e64 v0, 0, 1, s[4:5]
	v_add_u32_e32 v35, v34, v32
	v_cmp_gt_i32_e64 s[0:1], s29, v16
	v_cmp_ne_u32_e64 s[4:5], 1, v0
	s_branch .LBB22_4
.LBB22_3:                               ;   in Loop: Header=BB22_4 Depth=1
	s_waitcnt lgkmcnt(0)
	s_add_i32 s3, s3, s24
	s_cmp_gt_i32 s3, s31
	s_cbranch_scc1 .LBB22_13
.LBB22_4:                               ; =>This Loop Header: Depth=1
                                        ;     Child Loop BB22_7 Depth 2
	s_and_b64 vcc, exec, s[4:5]
	s_cbranch_vccnz .LBB22_3
; %bb.5:                                ;   in Loop: Header=BB22_4 Depth=1
	v_lshl_add_u32 v2, s3, 5, v31
	v_ashrrev_i32_e32 v3, 31, v2
	v_mul_lo_u32 v4, s36, v3
	v_mul_lo_u32 v5, s37, v2
	v_mad_u64_u32 v[0:1], s[8:9], s36, v2, 0
	v_add3_u32 v1, v1, v4, v5
	v_lshl_add_u64 v[20:21], v[0:1], 4, s[16:17]
	v_mul_lo_u32 v3, s44, v3
	v_mul_lo_u32 v4, s45, v2
	v_mad_u64_u32 v[0:1], s[8:9], s44, v2, 0
	v_cmp_gt_i32_e32 vcc, s30, v2
	v_add3_u32 v1, v1, v3, v4
	s_and_b64 s[18:19], s[0:1], vcc
	v_lshl_add_u64 v[22:23], v[0:1], 4, v[18:19]
	s_mov_b32 s2, 0
	s_branch .LBB22_7
.LBB22_6:                               ;   in Loop: Header=BB22_7 Depth=2
	s_or_b64 exec, exec, s[8:9]
	s_add_i32 s2, s2, 32
	s_cmp_ge_i32 s2, s29
	s_barrier
	s_cbranch_scc1 .LBB22_3
.LBB22_7:                               ;   Parent Loop BB22_4 Depth=1
                                        ; =>  This Inner Loop Header: Depth=2
	v_add_u32_e32 v0, s2, v31
	v_cndmask_b32_e64 v1, v0, v16, s[6:7]
	v_cndmask_b32_e64 v2, v16, v0, s[6:7]
	v_cmp_gt_i32_e64 s[8:9], v1, v2
	v_mov_b64_e32 v[2:3], 0
	v_mov_b64_e32 v[4:5], 0
	v_cndmask_b32_e64 v6, v16, v0, s[8:9]
	v_cndmask_b32_e64 v7, v0, v16, s[8:9]
	v_max_i32_e32 v0, v6, v7
	v_cmp_gt_i32_e64 s[8:9], s29, v0
	v_mov_b64_e32 v[0:1], 0
	s_and_saveexec_b64 s[22:23], s[8:9]
	s_cbranch_execz .LBB22_9
; %bb.8:                                ;   in Loop: Header=BB22_7 Depth=2
	v_ashrrev_i32_e32 v2, 31, v7
	v_mul_lo_u32 v4, s21, v7
	v_mul_lo_u32 v5, s20, v2
	v_mad_u64_u32 v[2:3], s[8:9], s20, v7, 0
	v_add3_u32 v3, v3, v5, v4
	v_ashrrev_i32_e32 v7, 31, v6
	v_lshl_add_u64 v[2:3], v[2:3], 4, s[10:11]
	v_lshl_add_u64 v[2:3], v[6:7], 4, v[2:3]
	global_load_dwordx4 v[2:5], v[2:3], off
.LBB22_9:                               ;   in Loop: Header=BB22_7 Depth=2
	s_or_b64 exec, exec, s[22:23]
	s_waitcnt vmcnt(0)
	ds_write_b128 v33, v[2:5]
	v_add_u32_e32 v4, s2, v30
	v_cmp_gt_i32_e64 s[8:9], s29, v4
	s_and_b64 s[22:23], s[8:9], vcc
	v_mov_b64_e32 v[2:3], 0
	s_and_saveexec_b64 s[8:9], s[22:23]
	s_cbranch_execz .LBB22_11
; %bb.10:                               ;   in Loop: Header=BB22_7 Depth=2
	v_ashrrev_i32_e32 v5, 31, v4
	v_lshl_add_u64 v[0:1], v[4:5], 4, v[20:21]
	global_load_dwordx4 v[0:3], v[0:1], off
.LBB22_11:                              ;   in Loop: Header=BB22_7 Depth=2
	s_or_b64 exec, exec, s[8:9]
	s_waitcnt vmcnt(0)
	ds_write_b128 v35, v[0:3]
	s_waitcnt lgkmcnt(0)
	s_barrier
	s_and_saveexec_b64 s[8:9], s[18:19]
	s_cbranch_execz .LBB22_6
; %bb.12:                               ;   in Loop: Header=BB22_7 Depth=2
	ds_read_b128 v[0:3], v34
	ds_read_b128 v[4:7], v32
	ds_read_b128 v[8:11], v32 offset:16
	ds_read_b128 v[12:15], v32 offset:32
	;; [unrolled: 1-line block ×4, first 2 shown]
	s_waitcnt lgkmcnt(4)
	v_mul_f64 v[28:29], v[2:3], v[6:7]
	v_fma_f64 v[28:29], v[0:1], v[4:5], -v[28:29]
	v_mul_f64 v[0:1], v[0:1], v[6:7]
	v_fmac_f64_e32 v[0:1], v[2:3], v[4:5]
	v_add_f64 v[6:7], v[0:1], 0
	s_waitcnt lgkmcnt(0)
	v_mul_f64 v[0:1], v[38:39], v[10:11]
	v_add_f64 v[4:5], v[28:29], 0
	v_fma_f64 v[28:29], v[36:37], v[8:9], -v[0:1]
	ds_read_b128 v[0:3], v34 offset:1024
	v_mul_f64 v[10:11], v[36:37], v[10:11]
	v_fmac_f64_e32 v[10:11], v[38:39], v[8:9]
	v_add_f64 v[8:9], v[4:5], v[28:29]
	v_add_f64 v[10:11], v[6:7], v[10:11]
	ds_read_b128 v[4:7], v34 offset:1536
	s_waitcnt lgkmcnt(1)
	v_mul_f64 v[28:29], v[2:3], v[14:15]
	v_fma_f64 v[28:29], v[0:1], v[12:13], -v[28:29]
	v_mul_f64 v[0:1], v[0:1], v[14:15]
	v_fmac_f64_e32 v[0:1], v[2:3], v[12:13]
	v_add_f64 v[10:11], v[10:11], v[0:1]
	s_waitcnt lgkmcnt(0)
	v_mul_f64 v[0:1], v[6:7], v[26:27]
	v_mul_f64 v[14:15], v[4:5], v[26:27]
	v_fma_f64 v[12:13], v[4:5], v[24:25], -v[0:1]
	v_fmac_f64_e32 v[14:15], v[6:7], v[24:25]
	ds_read_b128 v[0:3], v34 offset:2048
	ds_read_b128 v[4:7], v32 offset:64
	v_add_f64 v[8:9], v[8:9], v[28:29]
	v_add_f64 v[24:25], v[8:9], v[12:13]
	;; [unrolled: 1-line block ×3, first 2 shown]
	ds_read_b128 v[8:11], v34 offset:2560
	ds_read_b128 v[12:15], v32 offset:80
	s_waitcnt lgkmcnt(2)
	v_mul_f64 v[28:29], v[2:3], v[6:7]
	v_fma_f64 v[28:29], v[0:1], v[4:5], -v[28:29]
	v_mul_f64 v[0:1], v[0:1], v[6:7]
	v_fmac_f64_e32 v[0:1], v[2:3], v[4:5]
	v_add_f64 v[26:27], v[26:27], v[0:1]
	s_waitcnt lgkmcnt(0)
	v_mul_f64 v[0:1], v[10:11], v[14:15]
	v_add_f64 v[24:25], v[24:25], v[28:29]
	v_fma_f64 v[28:29], v[8:9], v[12:13], -v[0:1]
	ds_read_b128 v[0:3], v34 offset:3072
	ds_read_b128 v[4:7], v32 offset:96
	v_mul_f64 v[8:9], v[8:9], v[14:15]
	v_fmac_f64_e32 v[8:9], v[10:11], v[12:13]
	v_add_f64 v[26:27], v[26:27], v[8:9]
	ds_read_b128 v[8:11], v34 offset:3584
	ds_read_b128 v[12:15], v32 offset:112
	v_add_f64 v[24:25], v[24:25], v[28:29]
	s_waitcnt lgkmcnt(2)
	v_mul_f64 v[28:29], v[2:3], v[6:7]
	v_fma_f64 v[28:29], v[0:1], v[4:5], -v[28:29]
	v_mul_f64 v[0:1], v[0:1], v[6:7]
	v_fmac_f64_e32 v[0:1], v[2:3], v[4:5]
	v_add_f64 v[26:27], v[26:27], v[0:1]
	s_waitcnt lgkmcnt(0)
	v_mul_f64 v[0:1], v[10:11], v[14:15]
	v_add_f64 v[24:25], v[24:25], v[28:29]
	v_fma_f64 v[28:29], v[8:9], v[12:13], -v[0:1]
	ds_read_b128 v[0:3], v34 offset:4096
	ds_read_b128 v[4:7], v32 offset:128
	v_mul_f64 v[8:9], v[8:9], v[14:15]
	v_fmac_f64_e32 v[8:9], v[10:11], v[12:13]
	v_add_f64 v[26:27], v[26:27], v[8:9]
	ds_read_b128 v[8:11], v34 offset:4608
	ds_read_b128 v[12:15], v32 offset:144
	v_add_f64 v[24:25], v[24:25], v[28:29]
	s_waitcnt lgkmcnt(2)
	v_mul_f64 v[28:29], v[2:3], v[6:7]
	v_fma_f64 v[28:29], v[0:1], v[4:5], -v[28:29]
	v_mul_f64 v[0:1], v[0:1], v[6:7]
	v_fmac_f64_e32 v[0:1], v[2:3], v[4:5]
	v_add_f64 v[26:27], v[26:27], v[0:1]
	s_waitcnt lgkmcnt(0)
	v_mul_f64 v[0:1], v[10:11], v[14:15]
	v_add_f64 v[24:25], v[24:25], v[28:29]
	v_fma_f64 v[28:29], v[8:9], v[12:13], -v[0:1]
	ds_read_b128 v[0:3], v34 offset:5120
	ds_read_b128 v[4:7], v32 offset:160
	v_mul_f64 v[8:9], v[8:9], v[14:15]
	v_fmac_f64_e32 v[8:9], v[10:11], v[12:13]
	v_add_f64 v[26:27], v[26:27], v[8:9]
	ds_read_b128 v[8:11], v34 offset:5632
	ds_read_b128 v[12:15], v32 offset:176
	v_add_f64 v[24:25], v[24:25], v[28:29]
	s_waitcnt lgkmcnt(2)
	v_mul_f64 v[28:29], v[2:3], v[6:7]
	v_fma_f64 v[28:29], v[0:1], v[4:5], -v[28:29]
	v_mul_f64 v[0:1], v[0:1], v[6:7]
	v_fmac_f64_e32 v[0:1], v[2:3], v[4:5]
	v_add_f64 v[26:27], v[26:27], v[0:1]
	s_waitcnt lgkmcnt(0)
	v_mul_f64 v[0:1], v[10:11], v[14:15]
	v_add_f64 v[24:25], v[24:25], v[28:29]
	v_fma_f64 v[28:29], v[8:9], v[12:13], -v[0:1]
	ds_read_b128 v[0:3], v34 offset:6144
	ds_read_b128 v[4:7], v32 offset:192
	v_mul_f64 v[8:9], v[8:9], v[14:15]
	v_fmac_f64_e32 v[8:9], v[10:11], v[12:13]
	v_add_f64 v[26:27], v[26:27], v[8:9]
	ds_read_b128 v[8:11], v34 offset:6656
	ds_read_b128 v[12:15], v32 offset:208
	v_add_f64 v[24:25], v[24:25], v[28:29]
	s_waitcnt lgkmcnt(2)
	v_mul_f64 v[28:29], v[2:3], v[6:7]
	v_fma_f64 v[28:29], v[0:1], v[4:5], -v[28:29]
	v_mul_f64 v[0:1], v[0:1], v[6:7]
	v_fmac_f64_e32 v[0:1], v[2:3], v[4:5]
	v_add_f64 v[26:27], v[26:27], v[0:1]
	s_waitcnt lgkmcnt(0)
	v_mul_f64 v[0:1], v[10:11], v[14:15]
	v_add_f64 v[24:25], v[24:25], v[28:29]
	v_fma_f64 v[28:29], v[8:9], v[12:13], -v[0:1]
	ds_read_b128 v[0:3], v34 offset:7168
	ds_read_b128 v[4:7], v32 offset:224
	v_mul_f64 v[8:9], v[8:9], v[14:15]
	v_fmac_f64_e32 v[8:9], v[10:11], v[12:13]
	v_add_f64 v[26:27], v[26:27], v[8:9]
	ds_read_b128 v[8:11], v34 offset:7680
	ds_read_b128 v[12:15], v32 offset:240
	v_add_f64 v[24:25], v[24:25], v[28:29]
	s_waitcnt lgkmcnt(2)
	v_mul_f64 v[28:29], v[2:3], v[6:7]
	v_fma_f64 v[28:29], v[0:1], v[4:5], -v[28:29]
	v_mul_f64 v[0:1], v[0:1], v[6:7]
	v_fmac_f64_e32 v[0:1], v[2:3], v[4:5]
	v_add_f64 v[26:27], v[26:27], v[0:1]
	s_waitcnt lgkmcnt(0)
	v_mul_f64 v[0:1], v[10:11], v[14:15]
	v_add_f64 v[24:25], v[24:25], v[28:29]
	v_fma_f64 v[28:29], v[8:9], v[12:13], -v[0:1]
	ds_read_b128 v[0:3], v34 offset:8192
	ds_read_b128 v[4:7], v32 offset:256
	v_mul_f64 v[8:9], v[8:9], v[14:15]
	v_fmac_f64_e32 v[8:9], v[10:11], v[12:13]
	v_add_f64 v[26:27], v[26:27], v[8:9]
	ds_read_b128 v[8:11], v34 offset:8704
	ds_read_b128 v[12:15], v32 offset:272
	v_add_f64 v[24:25], v[24:25], v[28:29]
	s_waitcnt lgkmcnt(2)
	v_mul_f64 v[28:29], v[2:3], v[6:7]
	v_fma_f64 v[28:29], v[0:1], v[4:5], -v[28:29]
	v_mul_f64 v[0:1], v[0:1], v[6:7]
	v_fmac_f64_e32 v[0:1], v[2:3], v[4:5]
	v_add_f64 v[26:27], v[26:27], v[0:1]
	s_waitcnt lgkmcnt(0)
	v_mul_f64 v[0:1], v[10:11], v[14:15]
	v_add_f64 v[24:25], v[24:25], v[28:29]
	v_fma_f64 v[28:29], v[8:9], v[12:13], -v[0:1]
	ds_read_b128 v[0:3], v34 offset:9216
	ds_read_b128 v[4:7], v32 offset:288
	v_mul_f64 v[8:9], v[8:9], v[14:15]
	v_fmac_f64_e32 v[8:9], v[10:11], v[12:13]
	v_add_f64 v[26:27], v[26:27], v[8:9]
	ds_read_b128 v[8:11], v34 offset:9728
	ds_read_b128 v[12:15], v32 offset:304
	v_add_f64 v[24:25], v[24:25], v[28:29]
	s_waitcnt lgkmcnt(2)
	v_mul_f64 v[28:29], v[2:3], v[6:7]
	v_fma_f64 v[28:29], v[0:1], v[4:5], -v[28:29]
	v_mul_f64 v[0:1], v[0:1], v[6:7]
	v_fmac_f64_e32 v[0:1], v[2:3], v[4:5]
	v_add_f64 v[26:27], v[26:27], v[0:1]
	s_waitcnt lgkmcnt(0)
	v_mul_f64 v[0:1], v[10:11], v[14:15]
	v_add_f64 v[24:25], v[24:25], v[28:29]
	v_fma_f64 v[28:29], v[8:9], v[12:13], -v[0:1]
	ds_read_b128 v[0:3], v34 offset:10240
	ds_read_b128 v[4:7], v32 offset:320
	v_mul_f64 v[8:9], v[8:9], v[14:15]
	v_fmac_f64_e32 v[8:9], v[10:11], v[12:13]
	v_add_f64 v[26:27], v[26:27], v[8:9]
	ds_read_b128 v[8:11], v34 offset:10752
	ds_read_b128 v[12:15], v32 offset:336
	v_add_f64 v[24:25], v[24:25], v[28:29]
	s_waitcnt lgkmcnt(2)
	v_mul_f64 v[28:29], v[2:3], v[6:7]
	v_fma_f64 v[28:29], v[0:1], v[4:5], -v[28:29]
	v_mul_f64 v[0:1], v[0:1], v[6:7]
	v_fmac_f64_e32 v[0:1], v[2:3], v[4:5]
	v_add_f64 v[26:27], v[26:27], v[0:1]
	s_waitcnt lgkmcnt(0)
	v_mul_f64 v[0:1], v[10:11], v[14:15]
	v_add_f64 v[24:25], v[24:25], v[28:29]
	v_fma_f64 v[28:29], v[8:9], v[12:13], -v[0:1]
	v_mul_f64 v[8:9], v[8:9], v[14:15]
	v_fmac_f64_e32 v[8:9], v[10:11], v[12:13]
	ds_read_b128 v[0:3], v34 offset:11264
	ds_read_b128 v[4:7], v32 offset:352
	v_add_f64 v[26:27], v[26:27], v[8:9]
	ds_read_b128 v[8:11], v34 offset:11776
	ds_read_b128 v[12:15], v32 offset:368
	global_load_dwordx4 v[36:39], v[22:23], off
	v_add_f64 v[24:25], v[24:25], v[28:29]
	s_waitcnt lgkmcnt(2)
	v_mul_f64 v[28:29], v[2:3], v[6:7]
	v_fma_f64 v[28:29], v[0:1], v[4:5], -v[28:29]
	v_mul_f64 v[0:1], v[0:1], v[6:7]
	v_fmac_f64_e32 v[0:1], v[2:3], v[4:5]
	v_add_f64 v[26:27], v[26:27], v[0:1]
	s_waitcnt lgkmcnt(0)
	v_mul_f64 v[0:1], v[10:11], v[14:15]
	v_add_f64 v[24:25], v[24:25], v[28:29]
	v_fma_f64 v[28:29], v[8:9], v[12:13], -v[0:1]
	ds_read_b128 v[0:3], v34 offset:12288
	ds_read_b128 v[4:7], v32 offset:384
	v_mul_f64 v[8:9], v[8:9], v[14:15]
	v_fmac_f64_e32 v[8:9], v[10:11], v[12:13]
	v_add_f64 v[26:27], v[26:27], v[8:9]
	ds_read_b128 v[8:11], v34 offset:12800
	ds_read_b128 v[12:15], v32 offset:400
	v_add_f64 v[24:25], v[24:25], v[28:29]
	s_waitcnt lgkmcnt(2)
	v_mul_f64 v[28:29], v[2:3], v[6:7]
	v_fma_f64 v[28:29], v[0:1], v[4:5], -v[28:29]
	v_mul_f64 v[0:1], v[0:1], v[6:7]
	v_fmac_f64_e32 v[0:1], v[2:3], v[4:5]
	v_add_f64 v[26:27], v[26:27], v[0:1]
	s_waitcnt lgkmcnt(0)
	v_mul_f64 v[0:1], v[10:11], v[14:15]
	v_add_f64 v[24:25], v[24:25], v[28:29]
	v_fma_f64 v[28:29], v[8:9], v[12:13], -v[0:1]
	ds_read_b128 v[0:3], v34 offset:13312
	ds_read_b128 v[4:7], v32 offset:416
	v_mul_f64 v[8:9], v[8:9], v[14:15]
	v_fmac_f64_e32 v[8:9], v[10:11], v[12:13]
	v_add_f64 v[26:27], v[26:27], v[8:9]
	ds_read_b128 v[8:11], v34 offset:13824
	ds_read_b128 v[12:15], v32 offset:432
	;; [unrolled: 18-line block ×3, first 2 shown]
	v_add_f64 v[24:25], v[24:25], v[28:29]
	s_waitcnt lgkmcnt(2)
	v_mul_f64 v[28:29], v[2:3], v[6:7]
	v_fma_f64 v[28:29], v[0:1], v[4:5], -v[28:29]
	v_mul_f64 v[0:1], v[0:1], v[6:7]
	v_fmac_f64_e32 v[0:1], v[2:3], v[4:5]
	v_add_f64 v[26:27], v[26:27], v[0:1]
	s_waitcnt lgkmcnt(0)
	v_mul_f64 v[0:1], v[10:11], v[14:15]
	v_add_f64 v[24:25], v[24:25], v[28:29]
	v_fma_f64 v[28:29], v[8:9], v[12:13], -v[0:1]
	v_mul_f64 v[8:9], v[8:9], v[14:15]
	ds_read_b128 v[0:3], v34 offset:15360
	ds_read_b128 v[4:7], v32 offset:480
	v_fmac_f64_e32 v[8:9], v[10:11], v[12:13]
	v_add_f64 v[26:27], v[26:27], v[8:9]
	ds_read_b128 v[8:11], v34 offset:15872
	ds_read_b128 v[12:15], v32 offset:496
	v_add_f64 v[24:25], v[24:25], v[28:29]
	s_waitcnt lgkmcnt(2)
	v_mul_f64 v[28:29], v[2:3], v[6:7]
	v_fma_f64 v[28:29], v[0:1], v[4:5], -v[28:29]
	v_mul_f64 v[0:1], v[0:1], v[6:7]
	v_fmac_f64_e32 v[0:1], v[2:3], v[4:5]
	s_waitcnt lgkmcnt(0)
	v_mul_f64 v[6:7], v[8:9], v[14:15]
	v_add_f64 v[0:1], v[26:27], v[0:1]
	v_mul_f64 v[4:5], v[10:11], v[14:15]
	v_fmac_f64_e32 v[6:7], v[10:11], v[12:13]
	v_add_f64 v[2:3], v[24:25], v[28:29]
	v_fma_f64 v[4:5], v[8:9], v[12:13], -v[4:5]
	v_add_f64 v[0:1], v[0:1], v[6:7]
	v_add_f64 v[2:3], v[2:3], v[4:5]
	v_mul_f64 v[4:5], s[14:15], v[0:1]
	v_fma_f64 v[4:5], s[12:13], v[2:3], -v[4:5]
	v_mul_f64 v[2:3], s[14:15], v[2:3]
	v_fmac_f64_e32 v[2:3], s[12:13], v[0:1]
	s_waitcnt vmcnt(0)
	v_add_f64 v[0:1], v[36:37], v[4:5]
	v_add_f64 v[2:3], v[38:39], v[2:3]
	global_store_dwordx4 v[22:23], v[0:3], off
	s_branch .LBB22_6
.LBB22_13:
	s_endpgm
	.section	.rodata,"a",@progbits
	.p2align	6, 0x0
	.amdhsa_kernel _ZL24rocblas_symm_hemm_kernelILb0ELb0ELi32E19rocblas_complex_numIdEPKS1_PS1_EvbiiT2_T3_lllS6_lllT4_llli
		.amdhsa_group_segment_fixed_size 32768
		.amdhsa_private_segment_fixed_size 0
		.amdhsa_kernarg_size 392
		.amdhsa_user_sgpr_count 2
		.amdhsa_user_sgpr_dispatch_ptr 0
		.amdhsa_user_sgpr_queue_ptr 0
		.amdhsa_user_sgpr_kernarg_segment_ptr 1
		.amdhsa_user_sgpr_dispatch_id 0
		.amdhsa_user_sgpr_kernarg_preload_length 0
		.amdhsa_user_sgpr_kernarg_preload_offset 0
		.amdhsa_user_sgpr_private_segment_size 0
		.amdhsa_uses_dynamic_stack 0
		.amdhsa_enable_private_segment 0
		.amdhsa_system_sgpr_workgroup_id_x 1
		.amdhsa_system_sgpr_workgroup_id_y 1
		.amdhsa_system_sgpr_workgroup_id_z 1
		.amdhsa_system_sgpr_workgroup_info 0
		.amdhsa_system_vgpr_workitem_id 1
		.amdhsa_next_free_vgpr 40
		.amdhsa_next_free_sgpr 48
		.amdhsa_accum_offset 40
		.amdhsa_reserve_vcc 1
		.amdhsa_float_round_mode_32 0
		.amdhsa_float_round_mode_16_64 0
		.amdhsa_float_denorm_mode_32 3
		.amdhsa_float_denorm_mode_16_64 3
		.amdhsa_dx10_clamp 1
		.amdhsa_ieee_mode 1
		.amdhsa_fp16_overflow 0
		.amdhsa_tg_split 0
		.amdhsa_exception_fp_ieee_invalid_op 0
		.amdhsa_exception_fp_denorm_src 0
		.amdhsa_exception_fp_ieee_div_zero 0
		.amdhsa_exception_fp_ieee_overflow 0
		.amdhsa_exception_fp_ieee_underflow 0
		.amdhsa_exception_fp_ieee_inexact 0
		.amdhsa_exception_int_div_zero 0
	.end_amdhsa_kernel
	.section	.text._ZL24rocblas_symm_hemm_kernelILb0ELb0ELi32E19rocblas_complex_numIdEPKS1_PS1_EvbiiT2_T3_lllS6_lllT4_llli,"axG",@progbits,_ZL24rocblas_symm_hemm_kernelILb0ELb0ELi32E19rocblas_complex_numIdEPKS1_PS1_EvbiiT2_T3_lllS6_lllT4_llli,comdat
.Lfunc_end22:
	.size	_ZL24rocblas_symm_hemm_kernelILb0ELb0ELi32E19rocblas_complex_numIdEPKS1_PS1_EvbiiT2_T3_lllS6_lllT4_llli, .Lfunc_end22-_ZL24rocblas_symm_hemm_kernelILb0ELb0ELi32E19rocblas_complex_numIdEPKS1_PS1_EvbiiT2_T3_lllS6_lllT4_llli
                                        ; -- End function
	.set _ZL24rocblas_symm_hemm_kernelILb0ELb0ELi32E19rocblas_complex_numIdEPKS1_PS1_EvbiiT2_T3_lllS6_lllT4_llli.num_vgpr, 40
	.set _ZL24rocblas_symm_hemm_kernelILb0ELb0ELi32E19rocblas_complex_numIdEPKS1_PS1_EvbiiT2_T3_lllS6_lllT4_llli.num_agpr, 0
	.set _ZL24rocblas_symm_hemm_kernelILb0ELb0ELi32E19rocblas_complex_numIdEPKS1_PS1_EvbiiT2_T3_lllS6_lllT4_llli.numbered_sgpr, 48
	.set _ZL24rocblas_symm_hemm_kernelILb0ELb0ELi32E19rocblas_complex_numIdEPKS1_PS1_EvbiiT2_T3_lllS6_lllT4_llli.num_named_barrier, 0
	.set _ZL24rocblas_symm_hemm_kernelILb0ELb0ELi32E19rocblas_complex_numIdEPKS1_PS1_EvbiiT2_T3_lllS6_lllT4_llli.private_seg_size, 0
	.set _ZL24rocblas_symm_hemm_kernelILb0ELb0ELi32E19rocblas_complex_numIdEPKS1_PS1_EvbiiT2_T3_lllS6_lllT4_llli.uses_vcc, 1
	.set _ZL24rocblas_symm_hemm_kernelILb0ELb0ELi32E19rocblas_complex_numIdEPKS1_PS1_EvbiiT2_T3_lllS6_lllT4_llli.uses_flat_scratch, 0
	.set _ZL24rocblas_symm_hemm_kernelILb0ELb0ELi32E19rocblas_complex_numIdEPKS1_PS1_EvbiiT2_T3_lllS6_lllT4_llli.has_dyn_sized_stack, 0
	.set _ZL24rocblas_symm_hemm_kernelILb0ELb0ELi32E19rocblas_complex_numIdEPKS1_PS1_EvbiiT2_T3_lllS6_lllT4_llli.has_recursion, 0
	.set _ZL24rocblas_symm_hemm_kernelILb0ELb0ELi32E19rocblas_complex_numIdEPKS1_PS1_EvbiiT2_T3_lllS6_lllT4_llli.has_indirect_call, 0
	.section	.AMDGPU.csdata,"",@progbits
; Kernel info:
; codeLenInByte = 2840
; TotalNumSgprs: 54
; NumVgprs: 40
; NumAgprs: 0
; TotalNumVgprs: 40
; ScratchSize: 0
; MemoryBound: 1
; FloatMode: 240
; IeeeMode: 1
; LDSByteSize: 32768 bytes/workgroup (compile time only)
; SGPRBlocks: 6
; VGPRBlocks: 4
; NumSGPRsForWavesPerEU: 54
; NumVGPRsForWavesPerEU: 40
; AccumOffset: 40
; Occupancy: 8
; WaveLimiterHint : 0
; COMPUTE_PGM_RSRC2:SCRATCH_EN: 0
; COMPUTE_PGM_RSRC2:USER_SGPR: 2
; COMPUTE_PGM_RSRC2:TRAP_HANDLER: 0
; COMPUTE_PGM_RSRC2:TGID_X_EN: 1
; COMPUTE_PGM_RSRC2:TGID_Y_EN: 1
; COMPUTE_PGM_RSRC2:TGID_Z_EN: 1
; COMPUTE_PGM_RSRC2:TIDIG_COMP_CNT: 1
; COMPUTE_PGM_RSRC3_GFX90A:ACCUM_OFFSET: 9
; COMPUTE_PGM_RSRC3_GFX90A:TG_SPLIT: 0
	.section	.text._ZL24rocblas_symm_hemm_kernelILb0ELb1ELi32E19rocblas_complex_numIdEPKS1_PS1_EvbiiT2_T3_lllS6_lllT4_llli,"axG",@progbits,_ZL24rocblas_symm_hemm_kernelILb0ELb1ELi32E19rocblas_complex_numIdEPKS1_PS1_EvbiiT2_T3_lllS6_lllT4_llli,comdat
	.globl	_ZL24rocblas_symm_hemm_kernelILb0ELb1ELi32E19rocblas_complex_numIdEPKS1_PS1_EvbiiT2_T3_lllS6_lllT4_llli ; -- Begin function _ZL24rocblas_symm_hemm_kernelILb0ELb1ELi32E19rocblas_complex_numIdEPKS1_PS1_EvbiiT2_T3_lllS6_lllT4_llli
	.p2align	8
	.type	_ZL24rocblas_symm_hemm_kernelILb0ELb1ELi32E19rocblas_complex_numIdEPKS1_PS1_EvbiiT2_T3_lllS6_lllT4_llli,@function
_ZL24rocblas_symm_hemm_kernelILb0ELb1ELi32E19rocblas_complex_numIdEPKS1_PS1_EvbiiT2_T3_lllS6_lllT4_llli: ; @_ZL24rocblas_symm_hemm_kernelILb0ELb1ELi32E19rocblas_complex_numIdEPKS1_PS1_EvbiiT2_T3_lllS6_lllT4_llli
; %bb.0:
	s_load_dwordx16 s[8:23], s[0:1], 0x10
	s_waitcnt lgkmcnt(0)
	v_cmp_eq_f64_e64 s[6:7], s[8:9], 0
	v_cmp_eq_f64_e64 s[24:25], s[10:11], 0
	s_and_b64 s[6:7], s[6:7], s[24:25]
	s_and_b64 vcc, exec, s[6:7]
	s_cbranch_vccnz .LBB23_13
; %bb.1:
	s_load_dwordx4 s[36:39], s[0:1], 0x0
	s_waitcnt lgkmcnt(0)
	s_add_i32 s5, s38, -1
	s_ashr_i32 s6, s5, 31
	s_lshr_b32 s6, s6, 27
	s_add_i32 s5, s5, s6
	s_ashr_i32 s33, s5, 5
	s_cmp_gt_i32 s3, s33
	s_cbranch_scc1 .LBB23_13
; %bb.2:
	s_mul_i32 s5, s19, s4
	s_mul_hi_u32 s6, s18, s4
	s_add_i32 s7, s6, s5
	s_mul_i32 s6, s18, s4
	s_lshl_b64 s[6:7], s[6:7], 4
	s_add_u32 s5, s12, s6
	s_addc_u32 s12, s13, s7
	s_lshl_b64 s[6:7], s[14:15], 4
	s_add_u32 s18, s5, s6
	s_addc_u32 s19, s12, s7
	s_load_dwordx4 s[12:15], s[0:1], 0x70
	s_load_dwordx8 s[24:31], s[0:1], 0x50
	s_load_dword s34, s[0:1], 0x8c
	s_bitcmp1_b32 s36, 0
	s_cselect_b64 s[6:7], -1, 0
	v_and_b32_e32 v28, 0x3ff, v0
	s_waitcnt lgkmcnt(0)
	s_mul_i32 s0, s15, s4
	s_mul_hi_u32 s1, s14, s4
	s_add_i32 s1, s1, s0
	s_mul_i32 s0, s14, s4
	s_lshl_b64 s[0:1], s[0:1], 4
	s_add_u32 s5, s28, s0
	s_addc_u32 s15, s29, s1
	s_lshl_b64 s[0:1], s[30:31], 4
	s_add_u32 s14, s5, s0
	s_addc_u32 s15, s15, s1
	s_mul_i32 s0, s27, s4
	s_mul_hi_u32 s1, s26, s4
	s_add_i32 s1, s1, s0
	s_mul_i32 s0, s26, s4
	s_lshl_b64 s[0:1], s[0:1], 4
	s_add_u32 s4, s20, s0
	s_addc_u32 s5, s21, s1
	s_lshl_b64 s[0:1], s[22:23], 4
	s_add_u32 s4, s4, s0
	v_lshl_add_u32 v2, s2, 5, v28
	s_addc_u32 s5, s5, s1
	v_ashrrev_i32_e32 v3, 31, v2
	v_bfe_u32 v29, v0, 10, 10
	s_cmp_gt_i32 s38, 0
	v_lshlrev_b64 v[0:1], 4, v[2:3]
	v_cmp_gt_i32_e64 s[0:1], s37, v2
	v_lshl_add_u64 v[16:17], s[4:5], 0, v[0:1]
	v_lshlrev_b32_e32 v2, 4, v29
	s_cselect_b64 s[4:5], -1, 0
	v_lshlrev_b32_e32 v30, 9, v28
	v_or_b32_e32 v32, 0x4000, v2
	v_lshl_add_u64 v[18:19], s[14:15], 0, v[0:1]
	v_cndmask_b32_e64 v0, 0, 1, s[4:5]
	v_add_u32_e32 v31, v30, v2
	v_add_u32_e32 v33, v32, v30
	v_cmp_ne_u32_e64 s[4:5], 1, v0
	s_branch .LBB23_4
.LBB23_3:                               ;   in Loop: Header=BB23_4 Depth=1
	s_add_i32 s3, s3, s34
	s_cmp_gt_i32 s3, s33
	s_cbranch_scc1 .LBB23_13
.LBB23_4:                               ; =>This Loop Header: Depth=1
                                        ;     Child Loop BB23_7 Depth 2
	s_and_b64 vcc, exec, s[4:5]
	s_cbranch_vccnz .LBB23_3
; %bb.5:                                ;   in Loop: Header=BB23_4 Depth=1
	v_lshl_add_u32 v34, s3, 5, v29
	v_ashrrev_i32_e32 v0, 31, v34
	v_mul_lo_u32 v2, s12, v0
	v_mul_lo_u32 v3, s13, v34
	v_mad_u64_u32 v[0:1], s[20:21], s12, v34, 0
	v_cmp_gt_i32_e32 vcc, s38, v34
	v_add3_u32 v1, v1, v2, v3
	s_and_b64 s[14:15], s[0:1], vcc
	v_lshl_add_u64 v[20:21], v[0:1], 4, v[18:19]
	s_mov_b32 s2, 0
	s_branch .LBB23_7
.LBB23_6:                               ;   in Loop: Header=BB23_7 Depth=2
	s_or_b64 exec, exec, s[20:21]
	s_add_i32 s2, s2, 32
	s_cmp_ge_i32 s2, s38
	s_barrier
	s_cbranch_scc1 .LBB23_3
.LBB23_7:                               ;   Parent Loop BB23_4 Depth=1
                                        ; =>  This Inner Loop Header: Depth=2
	v_add_u32_e32 v6, s2, v29
	v_cmp_gt_i32_e32 vcc, s38, v6
	s_and_b64 s[22:23], s[0:1], vcc
	v_mov_b64_e32 v[0:1], 0
	v_mov_b64_e32 v[2:3], 0
	;; [unrolled: 1-line block ×3, first 2 shown]
	s_and_saveexec_b64 s[20:21], s[22:23]
	s_cbranch_execz .LBB23_9
; %bb.8:                                ;   in Loop: Header=BB23_7 Depth=2
	v_ashrrev_i32_e32 v2, 31, v6
	v_mul_lo_u32 v4, s25, v6
	v_mul_lo_u32 v5, s24, v2
	v_mad_u64_u32 v[2:3], s[22:23], s24, v6, 0
	v_add3_u32 v3, v3, v5, v4
	v_lshl_add_u64 v[2:3], v[2:3], 4, v[16:17]
	global_load_dwordx4 v[2:5], v[2:3], off
.LBB23_9:                               ;   in Loop: Header=BB23_7 Depth=2
	s_or_b64 exec, exec, s[20:21]
	s_waitcnt vmcnt(0)
	ds_write_b128 v31, v[2:5]
	v_add_u32_e32 v2, s2, v28
	v_cndmask_b32_e64 v3, v34, v2, s[6:7]
	v_cndmask_b32_e64 v4, v2, v34, s[6:7]
	v_cmp_gt_i32_e32 vcc, v3, v4
	s_nop 1
	v_cndmask_b32_e32 v4, v2, v34, vcc
	v_cndmask_b32_e32 v5, v34, v2, vcc
	v_max_i32_e32 v2, v4, v5
	v_cmp_gt_i32_e32 vcc, s38, v2
	v_mov_b64_e32 v[2:3], 0
	s_and_saveexec_b64 s[20:21], vcc
	s_cbranch_execz .LBB23_11
; %bb.10:                               ;   in Loop: Header=BB23_7 Depth=2
	v_ashrrev_i32_e32 v0, 31, v5
	v_mul_lo_u32 v2, s17, v5
	v_mul_lo_u32 v3, s16, v0
	v_mad_u64_u32 v[0:1], s[22:23], s16, v5, 0
	v_add3_u32 v1, v1, v3, v2
	v_ashrrev_i32_e32 v5, 31, v4
	v_lshl_add_u64 v[0:1], v[0:1], 4, s[18:19]
	v_lshl_add_u64 v[0:1], v[4:5], 4, v[0:1]
	global_load_dwordx4 v[0:3], v[0:1], off
.LBB23_11:                              ;   in Loop: Header=BB23_7 Depth=2
	s_or_b64 exec, exec, s[20:21]
	s_waitcnt vmcnt(0)
	ds_write_b128 v33, v[0:3]
	s_waitcnt lgkmcnt(0)
	s_barrier
	s_and_saveexec_b64 s[20:21], s[14:15]
	s_cbranch_execz .LBB23_6
; %bb.12:                               ;   in Loop: Header=BB23_7 Depth=2
	ds_read_b128 v[0:3], v32
	ds_read_b128 v[4:7], v30
	ds_read_b128 v[8:11], v30 offset:16
	ds_read_b128 v[12:15], v30 offset:32
	;; [unrolled: 1-line block ×4, first 2 shown]
	s_waitcnt lgkmcnt(4)
	v_mul_f64 v[26:27], v[2:3], v[6:7]
	v_fma_f64 v[26:27], v[0:1], v[4:5], -v[26:27]
	v_mul_f64 v[0:1], v[0:1], v[6:7]
	v_fmac_f64_e32 v[0:1], v[2:3], v[4:5]
	v_add_f64 v[6:7], v[0:1], 0
	s_waitcnt lgkmcnt(0)
	v_mul_f64 v[0:1], v[38:39], v[10:11]
	v_add_f64 v[4:5], v[26:27], 0
	v_fma_f64 v[26:27], v[36:37], v[8:9], -v[0:1]
	ds_read_b128 v[0:3], v32 offset:1024
	v_mul_f64 v[10:11], v[36:37], v[10:11]
	v_fmac_f64_e32 v[10:11], v[38:39], v[8:9]
	v_add_f64 v[8:9], v[4:5], v[26:27]
	v_add_f64 v[10:11], v[6:7], v[10:11]
	ds_read_b128 v[4:7], v32 offset:1536
	s_waitcnt lgkmcnt(1)
	v_mul_f64 v[26:27], v[2:3], v[14:15]
	v_fma_f64 v[26:27], v[0:1], v[12:13], -v[26:27]
	v_mul_f64 v[0:1], v[0:1], v[14:15]
	v_fmac_f64_e32 v[0:1], v[2:3], v[12:13]
	v_add_f64 v[10:11], v[10:11], v[0:1]
	s_waitcnt lgkmcnt(0)
	v_mul_f64 v[0:1], v[6:7], v[24:25]
	v_mul_f64 v[14:15], v[4:5], v[24:25]
	v_fma_f64 v[12:13], v[4:5], v[22:23], -v[0:1]
	v_fmac_f64_e32 v[14:15], v[6:7], v[22:23]
	ds_read_b128 v[0:3], v32 offset:2048
	ds_read_b128 v[4:7], v30 offset:64
	v_add_f64 v[8:9], v[8:9], v[26:27]
	v_add_f64 v[22:23], v[8:9], v[12:13]
	;; [unrolled: 1-line block ×3, first 2 shown]
	ds_read_b128 v[8:11], v32 offset:2560
	ds_read_b128 v[12:15], v30 offset:80
	s_waitcnt lgkmcnt(2)
	v_mul_f64 v[26:27], v[2:3], v[6:7]
	v_fma_f64 v[26:27], v[0:1], v[4:5], -v[26:27]
	v_mul_f64 v[0:1], v[0:1], v[6:7]
	v_fmac_f64_e32 v[0:1], v[2:3], v[4:5]
	v_add_f64 v[24:25], v[24:25], v[0:1]
	s_waitcnt lgkmcnt(0)
	v_mul_f64 v[0:1], v[10:11], v[14:15]
	v_add_f64 v[22:23], v[22:23], v[26:27]
	v_fma_f64 v[26:27], v[8:9], v[12:13], -v[0:1]
	ds_read_b128 v[0:3], v32 offset:3072
	ds_read_b128 v[4:7], v30 offset:96
	v_mul_f64 v[8:9], v[8:9], v[14:15]
	v_fmac_f64_e32 v[8:9], v[10:11], v[12:13]
	v_add_f64 v[24:25], v[24:25], v[8:9]
	ds_read_b128 v[8:11], v32 offset:3584
	ds_read_b128 v[12:15], v30 offset:112
	v_add_f64 v[22:23], v[22:23], v[26:27]
	s_waitcnt lgkmcnt(2)
	v_mul_f64 v[26:27], v[2:3], v[6:7]
	v_fma_f64 v[26:27], v[0:1], v[4:5], -v[26:27]
	v_mul_f64 v[0:1], v[0:1], v[6:7]
	v_fmac_f64_e32 v[0:1], v[2:3], v[4:5]
	v_add_f64 v[24:25], v[24:25], v[0:1]
	s_waitcnt lgkmcnt(0)
	v_mul_f64 v[0:1], v[10:11], v[14:15]
	v_add_f64 v[22:23], v[22:23], v[26:27]
	v_fma_f64 v[26:27], v[8:9], v[12:13], -v[0:1]
	ds_read_b128 v[0:3], v32 offset:4096
	ds_read_b128 v[4:7], v30 offset:128
	v_mul_f64 v[8:9], v[8:9], v[14:15]
	v_fmac_f64_e32 v[8:9], v[10:11], v[12:13]
	v_add_f64 v[24:25], v[24:25], v[8:9]
	ds_read_b128 v[8:11], v32 offset:4608
	ds_read_b128 v[12:15], v30 offset:144
	v_add_f64 v[22:23], v[22:23], v[26:27]
	s_waitcnt lgkmcnt(2)
	v_mul_f64 v[26:27], v[2:3], v[6:7]
	v_fma_f64 v[26:27], v[0:1], v[4:5], -v[26:27]
	v_mul_f64 v[0:1], v[0:1], v[6:7]
	v_fmac_f64_e32 v[0:1], v[2:3], v[4:5]
	v_add_f64 v[24:25], v[24:25], v[0:1]
	s_waitcnt lgkmcnt(0)
	v_mul_f64 v[0:1], v[10:11], v[14:15]
	v_add_f64 v[22:23], v[22:23], v[26:27]
	v_fma_f64 v[26:27], v[8:9], v[12:13], -v[0:1]
	ds_read_b128 v[0:3], v32 offset:5120
	ds_read_b128 v[4:7], v30 offset:160
	v_mul_f64 v[8:9], v[8:9], v[14:15]
	v_fmac_f64_e32 v[8:9], v[10:11], v[12:13]
	v_add_f64 v[24:25], v[24:25], v[8:9]
	ds_read_b128 v[8:11], v32 offset:5632
	ds_read_b128 v[12:15], v30 offset:176
	v_add_f64 v[22:23], v[22:23], v[26:27]
	s_waitcnt lgkmcnt(2)
	v_mul_f64 v[26:27], v[2:3], v[6:7]
	v_fma_f64 v[26:27], v[0:1], v[4:5], -v[26:27]
	v_mul_f64 v[0:1], v[0:1], v[6:7]
	v_fmac_f64_e32 v[0:1], v[2:3], v[4:5]
	v_add_f64 v[24:25], v[24:25], v[0:1]
	s_waitcnt lgkmcnt(0)
	v_mul_f64 v[0:1], v[10:11], v[14:15]
	v_add_f64 v[22:23], v[22:23], v[26:27]
	v_fma_f64 v[26:27], v[8:9], v[12:13], -v[0:1]
	ds_read_b128 v[0:3], v32 offset:6144
	ds_read_b128 v[4:7], v30 offset:192
	v_mul_f64 v[8:9], v[8:9], v[14:15]
	v_fmac_f64_e32 v[8:9], v[10:11], v[12:13]
	v_add_f64 v[24:25], v[24:25], v[8:9]
	ds_read_b128 v[8:11], v32 offset:6656
	ds_read_b128 v[12:15], v30 offset:208
	v_add_f64 v[22:23], v[22:23], v[26:27]
	s_waitcnt lgkmcnt(2)
	v_mul_f64 v[26:27], v[2:3], v[6:7]
	v_fma_f64 v[26:27], v[0:1], v[4:5], -v[26:27]
	v_mul_f64 v[0:1], v[0:1], v[6:7]
	v_fmac_f64_e32 v[0:1], v[2:3], v[4:5]
	v_add_f64 v[24:25], v[24:25], v[0:1]
	s_waitcnt lgkmcnt(0)
	v_mul_f64 v[0:1], v[10:11], v[14:15]
	v_add_f64 v[22:23], v[22:23], v[26:27]
	v_fma_f64 v[26:27], v[8:9], v[12:13], -v[0:1]
	ds_read_b128 v[0:3], v32 offset:7168
	ds_read_b128 v[4:7], v30 offset:224
	v_mul_f64 v[8:9], v[8:9], v[14:15]
	v_fmac_f64_e32 v[8:9], v[10:11], v[12:13]
	v_add_f64 v[24:25], v[24:25], v[8:9]
	ds_read_b128 v[8:11], v32 offset:7680
	ds_read_b128 v[12:15], v30 offset:240
	v_add_f64 v[22:23], v[22:23], v[26:27]
	s_waitcnt lgkmcnt(2)
	v_mul_f64 v[26:27], v[2:3], v[6:7]
	v_fma_f64 v[26:27], v[0:1], v[4:5], -v[26:27]
	v_mul_f64 v[0:1], v[0:1], v[6:7]
	v_fmac_f64_e32 v[0:1], v[2:3], v[4:5]
	v_add_f64 v[24:25], v[24:25], v[0:1]
	s_waitcnt lgkmcnt(0)
	v_mul_f64 v[0:1], v[10:11], v[14:15]
	v_add_f64 v[22:23], v[22:23], v[26:27]
	v_fma_f64 v[26:27], v[8:9], v[12:13], -v[0:1]
	ds_read_b128 v[0:3], v32 offset:8192
	ds_read_b128 v[4:7], v30 offset:256
	v_mul_f64 v[8:9], v[8:9], v[14:15]
	v_fmac_f64_e32 v[8:9], v[10:11], v[12:13]
	v_add_f64 v[24:25], v[24:25], v[8:9]
	ds_read_b128 v[8:11], v32 offset:8704
	ds_read_b128 v[12:15], v30 offset:272
	v_add_f64 v[22:23], v[22:23], v[26:27]
	s_waitcnt lgkmcnt(2)
	v_mul_f64 v[26:27], v[2:3], v[6:7]
	v_fma_f64 v[26:27], v[0:1], v[4:5], -v[26:27]
	v_mul_f64 v[0:1], v[0:1], v[6:7]
	v_fmac_f64_e32 v[0:1], v[2:3], v[4:5]
	v_add_f64 v[24:25], v[24:25], v[0:1]
	s_waitcnt lgkmcnt(0)
	v_mul_f64 v[0:1], v[10:11], v[14:15]
	v_add_f64 v[22:23], v[22:23], v[26:27]
	v_fma_f64 v[26:27], v[8:9], v[12:13], -v[0:1]
	ds_read_b128 v[0:3], v32 offset:9216
	ds_read_b128 v[4:7], v30 offset:288
	v_mul_f64 v[8:9], v[8:9], v[14:15]
	v_fmac_f64_e32 v[8:9], v[10:11], v[12:13]
	v_add_f64 v[24:25], v[24:25], v[8:9]
	ds_read_b128 v[8:11], v32 offset:9728
	ds_read_b128 v[12:15], v30 offset:304
	v_add_f64 v[22:23], v[22:23], v[26:27]
	s_waitcnt lgkmcnt(2)
	v_mul_f64 v[26:27], v[2:3], v[6:7]
	v_fma_f64 v[26:27], v[0:1], v[4:5], -v[26:27]
	v_mul_f64 v[0:1], v[0:1], v[6:7]
	v_fmac_f64_e32 v[0:1], v[2:3], v[4:5]
	v_add_f64 v[24:25], v[24:25], v[0:1]
	s_waitcnt lgkmcnt(0)
	v_mul_f64 v[0:1], v[10:11], v[14:15]
	v_add_f64 v[22:23], v[22:23], v[26:27]
	v_fma_f64 v[26:27], v[8:9], v[12:13], -v[0:1]
	ds_read_b128 v[0:3], v32 offset:10240
	ds_read_b128 v[4:7], v30 offset:320
	v_mul_f64 v[8:9], v[8:9], v[14:15]
	v_fmac_f64_e32 v[8:9], v[10:11], v[12:13]
	v_add_f64 v[24:25], v[24:25], v[8:9]
	ds_read_b128 v[8:11], v32 offset:10752
	ds_read_b128 v[12:15], v30 offset:336
	v_add_f64 v[22:23], v[22:23], v[26:27]
	s_waitcnt lgkmcnt(2)
	v_mul_f64 v[26:27], v[2:3], v[6:7]
	v_fma_f64 v[26:27], v[0:1], v[4:5], -v[26:27]
	v_mul_f64 v[0:1], v[0:1], v[6:7]
	v_fmac_f64_e32 v[0:1], v[2:3], v[4:5]
	v_add_f64 v[24:25], v[24:25], v[0:1]
	s_waitcnt lgkmcnt(0)
	v_mul_f64 v[0:1], v[10:11], v[14:15]
	v_add_f64 v[22:23], v[22:23], v[26:27]
	v_fma_f64 v[26:27], v[8:9], v[12:13], -v[0:1]
	v_mul_f64 v[8:9], v[8:9], v[14:15]
	v_fmac_f64_e32 v[8:9], v[10:11], v[12:13]
	ds_read_b128 v[0:3], v32 offset:11264
	ds_read_b128 v[4:7], v30 offset:352
	v_add_f64 v[24:25], v[24:25], v[8:9]
	ds_read_b128 v[8:11], v32 offset:11776
	ds_read_b128 v[12:15], v30 offset:368
	global_load_dwordx4 v[36:39], v[20:21], off
	v_add_f64 v[22:23], v[22:23], v[26:27]
	s_waitcnt lgkmcnt(2)
	v_mul_f64 v[26:27], v[2:3], v[6:7]
	v_fma_f64 v[26:27], v[0:1], v[4:5], -v[26:27]
	v_mul_f64 v[0:1], v[0:1], v[6:7]
	v_fmac_f64_e32 v[0:1], v[2:3], v[4:5]
	v_add_f64 v[24:25], v[24:25], v[0:1]
	s_waitcnt lgkmcnt(0)
	v_mul_f64 v[0:1], v[10:11], v[14:15]
	v_add_f64 v[22:23], v[22:23], v[26:27]
	v_fma_f64 v[26:27], v[8:9], v[12:13], -v[0:1]
	ds_read_b128 v[0:3], v32 offset:12288
	ds_read_b128 v[4:7], v30 offset:384
	v_mul_f64 v[8:9], v[8:9], v[14:15]
	v_fmac_f64_e32 v[8:9], v[10:11], v[12:13]
	v_add_f64 v[24:25], v[24:25], v[8:9]
	ds_read_b128 v[8:11], v32 offset:12800
	ds_read_b128 v[12:15], v30 offset:400
	v_add_f64 v[22:23], v[22:23], v[26:27]
	s_waitcnt lgkmcnt(2)
	v_mul_f64 v[26:27], v[2:3], v[6:7]
	v_fma_f64 v[26:27], v[0:1], v[4:5], -v[26:27]
	v_mul_f64 v[0:1], v[0:1], v[6:7]
	v_fmac_f64_e32 v[0:1], v[2:3], v[4:5]
	v_add_f64 v[24:25], v[24:25], v[0:1]
	s_waitcnt lgkmcnt(0)
	v_mul_f64 v[0:1], v[10:11], v[14:15]
	v_add_f64 v[22:23], v[22:23], v[26:27]
	v_fma_f64 v[26:27], v[8:9], v[12:13], -v[0:1]
	ds_read_b128 v[0:3], v32 offset:13312
	ds_read_b128 v[4:7], v30 offset:416
	v_mul_f64 v[8:9], v[8:9], v[14:15]
	v_fmac_f64_e32 v[8:9], v[10:11], v[12:13]
	v_add_f64 v[24:25], v[24:25], v[8:9]
	ds_read_b128 v[8:11], v32 offset:13824
	ds_read_b128 v[12:15], v30 offset:432
	;; [unrolled: 18-line block ×3, first 2 shown]
	v_add_f64 v[22:23], v[22:23], v[26:27]
	s_waitcnt lgkmcnt(2)
	v_mul_f64 v[26:27], v[2:3], v[6:7]
	v_fma_f64 v[26:27], v[0:1], v[4:5], -v[26:27]
	v_mul_f64 v[0:1], v[0:1], v[6:7]
	v_fmac_f64_e32 v[0:1], v[2:3], v[4:5]
	v_add_f64 v[24:25], v[24:25], v[0:1]
	s_waitcnt lgkmcnt(0)
	v_mul_f64 v[0:1], v[10:11], v[14:15]
	v_add_f64 v[22:23], v[22:23], v[26:27]
	v_fma_f64 v[26:27], v[8:9], v[12:13], -v[0:1]
	v_mul_f64 v[8:9], v[8:9], v[14:15]
	ds_read_b128 v[0:3], v32 offset:15360
	ds_read_b128 v[4:7], v30 offset:480
	v_fmac_f64_e32 v[8:9], v[10:11], v[12:13]
	v_add_f64 v[24:25], v[24:25], v[8:9]
	ds_read_b128 v[8:11], v32 offset:15872
	ds_read_b128 v[12:15], v30 offset:496
	v_add_f64 v[22:23], v[22:23], v[26:27]
	s_waitcnt lgkmcnt(2)
	v_mul_f64 v[26:27], v[2:3], v[6:7]
	v_fma_f64 v[26:27], v[0:1], v[4:5], -v[26:27]
	v_mul_f64 v[0:1], v[0:1], v[6:7]
	v_fmac_f64_e32 v[0:1], v[2:3], v[4:5]
	s_waitcnt lgkmcnt(0)
	v_mul_f64 v[6:7], v[8:9], v[14:15]
	v_add_f64 v[0:1], v[24:25], v[0:1]
	v_mul_f64 v[4:5], v[10:11], v[14:15]
	v_fmac_f64_e32 v[6:7], v[10:11], v[12:13]
	v_add_f64 v[2:3], v[22:23], v[26:27]
	v_fma_f64 v[4:5], v[8:9], v[12:13], -v[4:5]
	v_add_f64 v[0:1], v[0:1], v[6:7]
	v_add_f64 v[2:3], v[2:3], v[4:5]
	v_mul_f64 v[4:5], s[10:11], v[0:1]
	v_fma_f64 v[4:5], s[8:9], v[2:3], -v[4:5]
	v_mul_f64 v[2:3], s[10:11], v[2:3]
	v_fmac_f64_e32 v[2:3], s[8:9], v[0:1]
	s_waitcnt vmcnt(0)
	v_add_f64 v[0:1], v[36:37], v[4:5]
	v_add_f64 v[2:3], v[38:39], v[2:3]
	global_store_dwordx4 v[20:21], v[0:3], off
	s_branch .LBB23_6
.LBB23_13:
	s_endpgm
	.section	.rodata,"a",@progbits
	.p2align	6, 0x0
	.amdhsa_kernel _ZL24rocblas_symm_hemm_kernelILb0ELb1ELi32E19rocblas_complex_numIdEPKS1_PS1_EvbiiT2_T3_lllS6_lllT4_llli
		.amdhsa_group_segment_fixed_size 32768
		.amdhsa_private_segment_fixed_size 0
		.amdhsa_kernarg_size 392
		.amdhsa_user_sgpr_count 2
		.amdhsa_user_sgpr_dispatch_ptr 0
		.amdhsa_user_sgpr_queue_ptr 0
		.amdhsa_user_sgpr_kernarg_segment_ptr 1
		.amdhsa_user_sgpr_dispatch_id 0
		.amdhsa_user_sgpr_kernarg_preload_length 0
		.amdhsa_user_sgpr_kernarg_preload_offset 0
		.amdhsa_user_sgpr_private_segment_size 0
		.amdhsa_uses_dynamic_stack 0
		.amdhsa_enable_private_segment 0
		.amdhsa_system_sgpr_workgroup_id_x 1
		.amdhsa_system_sgpr_workgroup_id_y 1
		.amdhsa_system_sgpr_workgroup_id_z 1
		.amdhsa_system_sgpr_workgroup_info 0
		.amdhsa_system_vgpr_workitem_id 1
		.amdhsa_next_free_vgpr 40
		.amdhsa_next_free_sgpr 40
		.amdhsa_accum_offset 40
		.amdhsa_reserve_vcc 1
		.amdhsa_float_round_mode_32 0
		.amdhsa_float_round_mode_16_64 0
		.amdhsa_float_denorm_mode_32 3
		.amdhsa_float_denorm_mode_16_64 3
		.amdhsa_dx10_clamp 1
		.amdhsa_ieee_mode 1
		.amdhsa_fp16_overflow 0
		.amdhsa_tg_split 0
		.amdhsa_exception_fp_ieee_invalid_op 0
		.amdhsa_exception_fp_denorm_src 0
		.amdhsa_exception_fp_ieee_div_zero 0
		.amdhsa_exception_fp_ieee_overflow 0
		.amdhsa_exception_fp_ieee_underflow 0
		.amdhsa_exception_fp_ieee_inexact 0
		.amdhsa_exception_int_div_zero 0
	.end_amdhsa_kernel
	.section	.text._ZL24rocblas_symm_hemm_kernelILb0ELb1ELi32E19rocblas_complex_numIdEPKS1_PS1_EvbiiT2_T3_lllS6_lllT4_llli,"axG",@progbits,_ZL24rocblas_symm_hemm_kernelILb0ELb1ELi32E19rocblas_complex_numIdEPKS1_PS1_EvbiiT2_T3_lllS6_lllT4_llli,comdat
.Lfunc_end23:
	.size	_ZL24rocblas_symm_hemm_kernelILb0ELb1ELi32E19rocblas_complex_numIdEPKS1_PS1_EvbiiT2_T3_lllS6_lllT4_llli, .Lfunc_end23-_ZL24rocblas_symm_hemm_kernelILb0ELb1ELi32E19rocblas_complex_numIdEPKS1_PS1_EvbiiT2_T3_lllS6_lllT4_llli
                                        ; -- End function
	.set _ZL24rocblas_symm_hemm_kernelILb0ELb1ELi32E19rocblas_complex_numIdEPKS1_PS1_EvbiiT2_T3_lllS6_lllT4_llli.num_vgpr, 40
	.set _ZL24rocblas_symm_hemm_kernelILb0ELb1ELi32E19rocblas_complex_numIdEPKS1_PS1_EvbiiT2_T3_lllS6_lllT4_llli.num_agpr, 0
	.set _ZL24rocblas_symm_hemm_kernelILb0ELb1ELi32E19rocblas_complex_numIdEPKS1_PS1_EvbiiT2_T3_lllS6_lllT4_llli.numbered_sgpr, 40
	.set _ZL24rocblas_symm_hemm_kernelILb0ELb1ELi32E19rocblas_complex_numIdEPKS1_PS1_EvbiiT2_T3_lllS6_lllT4_llli.num_named_barrier, 0
	.set _ZL24rocblas_symm_hemm_kernelILb0ELb1ELi32E19rocblas_complex_numIdEPKS1_PS1_EvbiiT2_T3_lllS6_lllT4_llli.private_seg_size, 0
	.set _ZL24rocblas_symm_hemm_kernelILb0ELb1ELi32E19rocblas_complex_numIdEPKS1_PS1_EvbiiT2_T3_lllS6_lllT4_llli.uses_vcc, 1
	.set _ZL24rocblas_symm_hemm_kernelILb0ELb1ELi32E19rocblas_complex_numIdEPKS1_PS1_EvbiiT2_T3_lllS6_lllT4_llli.uses_flat_scratch, 0
	.set _ZL24rocblas_symm_hemm_kernelILb0ELb1ELi32E19rocblas_complex_numIdEPKS1_PS1_EvbiiT2_T3_lllS6_lllT4_llli.has_dyn_sized_stack, 0
	.set _ZL24rocblas_symm_hemm_kernelILb0ELb1ELi32E19rocblas_complex_numIdEPKS1_PS1_EvbiiT2_T3_lllS6_lllT4_llli.has_recursion, 0
	.set _ZL24rocblas_symm_hemm_kernelILb0ELb1ELi32E19rocblas_complex_numIdEPKS1_PS1_EvbiiT2_T3_lllS6_lllT4_llli.has_indirect_call, 0
	.section	.AMDGPU.csdata,"",@progbits
; Kernel info:
; codeLenInByte = 2828
; TotalNumSgprs: 46
; NumVgprs: 40
; NumAgprs: 0
; TotalNumVgprs: 40
; ScratchSize: 0
; MemoryBound: 1
; FloatMode: 240
; IeeeMode: 1
; LDSByteSize: 32768 bytes/workgroup (compile time only)
; SGPRBlocks: 5
; VGPRBlocks: 4
; NumSGPRsForWavesPerEU: 46
; NumVGPRsForWavesPerEU: 40
; AccumOffset: 40
; Occupancy: 8
; WaveLimiterHint : 0
; COMPUTE_PGM_RSRC2:SCRATCH_EN: 0
; COMPUTE_PGM_RSRC2:USER_SGPR: 2
; COMPUTE_PGM_RSRC2:TRAP_HANDLER: 0
; COMPUTE_PGM_RSRC2:TGID_X_EN: 1
; COMPUTE_PGM_RSRC2:TGID_Y_EN: 1
; COMPUTE_PGM_RSRC2:TGID_Z_EN: 1
; COMPUTE_PGM_RSRC2:TIDIG_COMP_CNT: 1
; COMPUTE_PGM_RSRC3_GFX90A:ACCUM_OFFSET: 9
; COMPUTE_PGM_RSRC3_GFX90A:TG_SPLIT: 0
	.section	.text._ZL24rocblas_symm_hemm_kernelILb1ELb0ELi32EPK19rocblas_complex_numIfES3_PS1_EvbiiT2_T3_lllS6_lllT4_llli,"axG",@progbits,_ZL24rocblas_symm_hemm_kernelILb1ELb0ELi32EPK19rocblas_complex_numIfES3_PS1_EvbiiT2_T3_lllS6_lllT4_llli,comdat
	.globl	_ZL24rocblas_symm_hemm_kernelILb1ELb0ELi32EPK19rocblas_complex_numIfES3_PS1_EvbiiT2_T3_lllS6_lllT4_llli ; -- Begin function _ZL24rocblas_symm_hemm_kernelILb1ELb0ELi32EPK19rocblas_complex_numIfES3_PS1_EvbiiT2_T3_lllS6_lllT4_llli
	.p2align	8
	.type	_ZL24rocblas_symm_hemm_kernelILb1ELb0ELi32EPK19rocblas_complex_numIfES3_PS1_EvbiiT2_T3_lllS6_lllT4_llli,@function
_ZL24rocblas_symm_hemm_kernelILb1ELb0ELi32EPK19rocblas_complex_numIfES3_PS1_EvbiiT2_T3_lllS6_lllT4_llli: ; @_ZL24rocblas_symm_hemm_kernelILb1ELb0ELi32EPK19rocblas_complex_numIfES3_PS1_EvbiiT2_T3_lllS6_lllT4_llli
; %bb.0:
	s_load_dwordx16 s[8:23], s[0:1], 0x10
	s_waitcnt lgkmcnt(0)
	s_load_dwordx2 s[34:35], s[8:9], 0x0
	s_waitcnt lgkmcnt(0)
	v_cmp_eq_f32_e64 s[6:7], s34, 0
	v_cmp_eq_f32_e64 s[8:9], s35, 0
	s_and_b64 s[6:7], s[6:7], s[8:9]
	s_and_b64 vcc, exec, s[6:7]
	s_cbranch_vccnz .LBB24_21
; %bb.1:
	s_load_dwordx4 s[36:39], s[0:1], 0x0
	s_waitcnt lgkmcnt(0)
	s_add_i32 s5, s38, -1
	s_ashr_i32 s6, s5, 31
	s_lshr_b32 s6, s6, 27
	s_add_i32 s5, s5, s6
	s_ashr_i32 s33, s5, 5
	s_cmp_gt_i32 s3, s33
	s_cbranch_scc1 .LBB24_21
; %bb.2:
	s_load_dwordx8 s[24:31], s[0:1], 0x50
	s_load_dwordx2 s[8:9], s[0:1], 0x70
	v_and_b32_e32 v22, 0x3ff, v0
	v_lshl_add_u32 v8, s2, 5, v22
	v_ashrrev_i32_e32 v9, 31, v8
	s_waitcnt lgkmcnt(0)
	s_mul_i32 s5, s25, s4
	s_mul_hi_u32 s7, s24, s4
	s_mul_i32 s6, s24, s4
	s_add_i32 s7, s7, s5
	s_lshl_b64 s[6:7], s[6:7], 3
	s_add_u32 s5, s18, s6
	s_addc_u32 s19, s19, s7
	s_lshl_b64 s[6:7], s[20:21], 3
	s_add_u32 s18, s5, s6
	s_addc_u32 s19, s19, s7
	s_bitcmp1_b32 s36, 0
	s_load_dword s24, s[0:1], 0x84
	s_mul_i32 s0, s9, s4
	s_mul_hi_u32 s1, s8, s4
	s_cselect_b64 s[6:7], -1, 0
	s_add_i32 s1, s1, s0
	s_mul_i32 s0, s8, s4
	s_lshl_b64 s[0:1], s[0:1], 3
	s_add_u32 s5, s26, s0
	s_addc_u32 s8, s27, s1
	s_lshl_b64 s[0:1], s[28:29], 3
	s_add_u32 s0, s5, s0
	s_addc_u32 s1, s8, s1
	s_mul_i32 s5, s17, s4
	s_mul_hi_u32 s8, s16, s4
	s_add_i32 s5, s8, s5
	s_mul_i32 s4, s16, s4
	s_lshl_b64 s[4:5], s[4:5], 3
	s_add_u32 s8, s10, s4
	s_addc_u32 s9, s11, s5
	s_lshl_b64 s[4:5], s[12:13], 3
	s_add_u32 s4, s8, s4
	s_addc_u32 s5, s9, s5
	v_bfe_u32 v23, v0, 10, 10
	s_cmp_gt_i32 s37, 0
	v_lshlrev_b64 v[0:1], 3, v[8:9]
	v_mul_lo_u32 v4, s14, v9
	v_mul_lo_u32 v5, s15, v8
	v_mad_u64_u32 v[2:3], s[8:9], s14, v8, 0
	v_add3_u32 v3, v3, v4, v5
	v_lshlrev_b32_e32 v4, 3, v23
	v_lshl_add_u64 v[14:15], s[0:1], 0, v[0:1]
	s_cselect_b64 s[0:1], -1, 0
	v_lshl_add_u64 v[10:11], s[4:5], 0, v[0:1]
	v_lshlrev_b64 v[2:3], 3, v[2:3]
	v_lshlrev_b32_e32 v9, 8, v22
	v_or_b32_e32 v25, 0x2000, v4
	v_cndmask_b32_e64 v0, 0, 1, s[0:1]
	v_lshl_add_u64 v[12:13], s[4:5], 0, v[2:3]
	v_add_u32_e32 v24, v9, v4
	v_add_u32_e32 v26, v25, v9
	v_cmp_gt_i32_e64 s[8:9], s37, v8
	v_lshl_add_u64 v[16:17], v[10:11], 0, v[2:3]
	s_mov_b32 s12, s35
	s_mov_b32 s13, s34
	v_cmp_ne_u32_e64 s[4:5], 1, v0
	v_add_u32_e32 v27, 0x800, v25
	v_add_u32_e32 v28, 0x1000, v25
	;; [unrolled: 1-line block ×3, first 2 shown]
	s_branch .LBB24_4
.LBB24_3:                               ;   in Loop: Header=BB24_4 Depth=1
	s_waitcnt lgkmcnt(0)
	s_add_i32 s3, s3, s24
	s_cmp_gt_i32 s3, s33
	s_cbranch_scc1 .LBB24_21
.LBB24_4:                               ; =>This Loop Header: Depth=1
                                        ;     Child Loop BB24_7 Depth 2
	s_and_b64 vcc, exec, s[4:5]
	s_cbranch_vccnz .LBB24_3
; %bb.5:                                ;   in Loop: Header=BB24_4 Depth=1
	v_lshl_add_u32 v2, s3, 5, v23
	v_ashrrev_i32_e32 v3, 31, v2
	v_mul_lo_u32 v4, s22, v3
	v_mul_lo_u32 v5, s23, v2
	v_mad_u64_u32 v[0:1], s[0:1], s22, v2, 0
	v_add3_u32 v1, v1, v4, v5
	v_lshl_add_u64 v[18:19], v[0:1], 3, s[18:19]
	v_mul_lo_u32 v3, s30, v3
	v_mul_lo_u32 v4, s31, v2
	v_mad_u64_u32 v[0:1], s[0:1], s30, v2, 0
	v_cmp_gt_i32_e32 vcc, s38, v2
	v_add3_u32 v1, v1, v3, v4
	s_and_b64 s[16:17], s[8:9], vcc
	v_lshl_add_u64 v[20:21], v[0:1], 3, v[14:15]
	s_mov_b32 s2, 0
	s_branch .LBB24_7
.LBB24_6:                               ;   in Loop: Header=BB24_7 Depth=2
	s_or_b64 exec, exec, s[0:1]
	s_add_i32 s2, s2, 32
	s_cmp_ge_i32 s2, s37
	s_barrier
	s_cbranch_scc1 .LBB24_3
.LBB24_7:                               ;   Parent Loop BB24_4 Depth=1
                                        ; =>  This Inner Loop Header: Depth=2
	v_add_u32_e32 v4, s2, v23
	v_cndmask_b32_e64 v0, v4, v8, s[6:7]
	v_cndmask_b32_e64 v1, v8, v4, s[6:7]
	v_cmp_gt_i32_e64 s[10:11], v0, v1
	v_cmp_le_i32_e64 s[0:1], v0, v1
	v_mov_b32_e32 v2, 0
	v_cndmask_b32_e64 v0, v8, v4, s[10:11]
	v_cndmask_b32_e64 v1, v4, v8, s[10:11]
	v_max_i32_e32 v0, v0, v1
	v_cmp_gt_i32_e64 s[10:11], s37, v0
	v_mov_b32_e32 v0, 0
	v_mov_b32_e32 v3, 0
	s_and_saveexec_b64 s[20:21], s[10:11]
	s_cbranch_execz .LBB24_17
; %bb.8:                                ;   in Loop: Header=BB24_7 Depth=2
                                        ; implicit-def: $vgpr3
	s_and_saveexec_b64 s[10:11], s[0:1]
	s_xor_b64 s[10:11], exec, s[10:11]
	s_cbranch_execz .LBB24_14
; %bb.9:                                ;   in Loop: Header=BB24_7 Depth=2
	v_cmp_ne_u32_e64 s[0:1], v4, v8
                                        ; implicit-def: $vgpr3
	s_and_saveexec_b64 s[26:27], s[0:1]
	s_xor_b64 s[0:1], exec, s[26:27]
	s_cbranch_execz .LBB24_11
; %bb.10:                               ;   in Loop: Header=BB24_7 Depth=2
	v_ashrrev_i32_e32 v1, 31, v4
	v_mul_lo_u32 v5, s15, v4
	v_mul_lo_u32 v1, s14, v1
	v_mad_u64_u32 v[2:3], s[26:27], s14, v4, 0
	v_add3_u32 v3, v3, v1, v5
	v_lshl_add_u64 v[2:3], v[2:3], 3, v[10:11]
	global_load_dwordx2 v[2:3], v[2:3], off
.LBB24_11:                              ;   in Loop: Header=BB24_7 Depth=2
	s_andn2_saveexec_b64 s[0:1], s[0:1]
	s_cbranch_execz .LBB24_13
; %bb.12:                               ;   in Loop: Header=BB24_7 Depth=2
	global_load_dword v2, v[16:17], off
	s_waitcnt vmcnt(1)
	v_mov_b32_e32 v3, 0
.LBB24_13:                              ;   in Loop: Header=BB24_7 Depth=2
	s_or_b64 exec, exec, s[0:1]
                                        ; implicit-def: $vgpr4
.LBB24_14:                              ;   in Loop: Header=BB24_7 Depth=2
	s_andn2_saveexec_b64 s[0:1], s[10:11]
	s_cbranch_execz .LBB24_16
; %bb.15:                               ;   in Loop: Header=BB24_7 Depth=2
	v_ashrrev_i32_e32 v5, 31, v4
	s_waitcnt vmcnt(0)
	v_lshl_add_u64 v[2:3], v[4:5], 3, v[12:13]
	global_load_dwordx2 v[2:3], v[2:3], off
	s_waitcnt vmcnt(0)
	v_xor_b32_e32 v3, 0x80000000, v3
.LBB24_16:                              ;   in Loop: Header=BB24_7 Depth=2
	s_or_b64 exec, exec, s[0:1]
.LBB24_17:                              ;   in Loop: Header=BB24_7 Depth=2
	s_or_b64 exec, exec, s[20:21]
	s_waitcnt vmcnt(0)
	ds_write_b64 v24, v[2:3]
	v_add_u32_e32 v2, s2, v22
	v_cmp_gt_i32_e64 s[0:1], s37, v2
	s_and_b64 s[10:11], s[0:1], vcc
	v_mov_b32_e32 v1, 0
	s_and_saveexec_b64 s[0:1], s[10:11]
	s_cbranch_execz .LBB24_19
; %bb.18:                               ;   in Loop: Header=BB24_7 Depth=2
	v_ashrrev_i32_e32 v3, 31, v2
	v_lshl_add_u64 v[0:1], v[2:3], 3, v[18:19]
	global_load_dwordx2 v[0:1], v[0:1], off
.LBB24_19:                              ;   in Loop: Header=BB24_7 Depth=2
	s_or_b64 exec, exec, s[0:1]
	s_waitcnt vmcnt(0)
	ds_write_b64 v26, v[0:1]
	s_waitcnt lgkmcnt(0)
	s_barrier
	s_and_saveexec_b64 s[0:1], s[16:17]
	s_cbranch_execz .LBB24_6
; %bb.20:                               ;   in Loop: Header=BB24_7 Depth=2
	ds_read2_b64 v[0:3], v25 offset1:32
	ds_read_b128 v[4:7], v9
	ds_read_b128 v[30:33], v9 offset:16
	ds_read_b128 v[34:37], v9 offset:32
	;; [unrolled: 1-line block ×3, first 2 shown]
	s_waitcnt lgkmcnt(3)
	v_mul_f32_e32 v42, v1, v5
	v_fma_f32 v42, v0, v4, -v42
	v_mul_f32_e32 v0, v0, v5
	v_fmac_f32_e32 v0, v1, v4
	v_add_f32_e32 v1, 0, v42
	ds_read2_b64 v[42:45], v25 offset0:64 offset1:96
	v_mul_f32_e32 v4, v3, v7
	v_fma_f32 v4, v2, v6, -v4
	v_mul_f32_e32 v2, v2, v7
	v_add_f32_e32 v0, 0, v0
	v_fmac_f32_e32 v2, v3, v6
	s_waitcnt lgkmcnt(0)
	v_mul_f32_e32 v3, v42, v31
	v_add_f32_e32 v0, v0, v2
	v_mul_f32_e32 v2, v43, v31
	v_fmac_f32_e32 v3, v43, v30
	v_add_f32_e32 v1, v1, v4
	v_fma_f32 v2, v42, v30, -v2
	v_add_f32_e32 v5, v0, v3
	v_mul_f32_e32 v0, v45, v33
	v_add_f32_e32 v4, v1, v2
	v_fma_f32 v6, v44, v32, -v0
	ds_read2_b64 v[0:3], v25 offset0:128 offset1:160
	v_mul_f32_e32 v7, v44, v33
	v_add_f32_e32 v4, v4, v6
	v_fmac_f32_e32 v7, v45, v32
	v_add_f32_e32 v5, v5, v7
	s_waitcnt lgkmcnt(0)
	v_mul_f32_e32 v6, v1, v35
	v_fma_f32 v6, v0, v34, -v6
	v_mul_f32_e32 v0, v0, v35
	v_fmac_f32_e32 v0, v1, v34
	v_add_f32_e32 v1, v4, v6
	v_mul_f32_e32 v4, v3, v37
	v_add_f32_e32 v0, v5, v0
	v_fma_f32 v30, v2, v36, -v4
	ds_read2_b64 v[4:7], v25 offset0:192 offset1:224
	v_mul_f32_e32 v2, v2, v37
	v_fmac_f32_e32 v2, v3, v36
	v_add_f32_e32 v0, v0, v2
	v_add_f32_e32 v1, v1, v30
	s_waitcnt lgkmcnt(0)
	v_mul_f32_e32 v3, v4, v39
	v_mul_f32_e32 v2, v5, v39
	v_fmac_f32_e32 v3, v5, v38
	v_fma_f32 v2, v4, v38, -v2
	v_add_f32_e32 v5, v0, v3
	v_mul_f32_e32 v0, v7, v41
	v_add_f32_e32 v4, v1, v2
	v_fma_f32 v34, v6, v40, -v0
	ds_read_b128 v[0:3], v9 offset:64
	ds_read2_b64 v[30:33], v27 offset1:32
	v_mul_f32_e32 v6, v6, v41
	v_fmac_f32_e32 v6, v7, v40
	v_add_f32_e32 v34, v4, v34
	v_add_f32_e32 v35, v5, v6
	s_waitcnt lgkmcnt(0)
	v_mul_f32_e32 v36, v31, v1
	v_mul_f32_e32 v1, v30, v1
	v_fma_f32 v36, v30, v0, -v36
	v_fmac_f32_e32 v1, v31, v0
	ds_read_b128 v[4:7], v9 offset:80
	v_add_f32_e32 v0, v34, v36
	v_add_f32_e32 v1, v35, v1
	ds_read2_b64 v[34:37], v27 offset0:64 offset1:96
	v_mul_f32_e32 v30, v33, v3
	v_mul_f32_e32 v3, v32, v3
	v_fma_f32 v30, v32, v2, -v30
	v_fmac_f32_e32 v3, v33, v2
	s_waitcnt lgkmcnt(0)
	v_mul_f32_e32 v2, v35, v5
	v_add_f32_e32 v0, v0, v30
	v_add_f32_e32 v1, v1, v3
	v_fma_f32 v2, v34, v4, -v2
	v_mul_f32_e32 v3, v34, v5
	v_fmac_f32_e32 v3, v35, v4
	v_add_f32_e32 v4, v0, v2
	v_mul_f32_e32 v0, v37, v7
	v_add_f32_e32 v5, v1, v3
	v_fma_f32 v34, v36, v6, -v0
	ds_read_b128 v[0:3], v9 offset:96
	ds_read2_b64 v[30:33], v27 offset0:128 offset1:160
	v_mul_f32_e32 v7, v36, v7
	v_fmac_f32_e32 v7, v37, v6
	v_add_f32_e32 v34, v4, v34
	v_add_f32_e32 v35, v5, v7
	s_waitcnt lgkmcnt(0)
	v_mul_f32_e32 v36, v31, v1
	v_mul_f32_e32 v1, v30, v1
	v_fma_f32 v36, v30, v0, -v36
	v_fmac_f32_e32 v1, v31, v0
	ds_read_b128 v[4:7], v9 offset:112
	v_add_f32_e32 v0, v34, v36
	v_add_f32_e32 v1, v35, v1
	ds_read2_b64 v[34:37], v27 offset0:192 offset1:224
	v_mul_f32_e32 v30, v33, v3
	v_mul_f32_e32 v3, v32, v3
	v_fma_f32 v30, v32, v2, -v30
	v_fmac_f32_e32 v3, v33, v2
	s_waitcnt lgkmcnt(0)
	v_mul_f32_e32 v2, v35, v5
	v_add_f32_e32 v0, v0, v30
	v_add_f32_e32 v1, v1, v3
	v_fma_f32 v2, v34, v4, -v2
	v_mul_f32_e32 v3, v34, v5
	v_fmac_f32_e32 v3, v35, v4
	v_add_f32_e32 v4, v0, v2
	v_mul_f32_e32 v0, v37, v7
	v_add_f32_e32 v5, v1, v3
	v_fma_f32 v34, v36, v6, -v0
	ds_read_b128 v[0:3], v9 offset:128
	ds_read2_b64 v[30:33], v28 offset1:32
	v_mul_f32_e32 v7, v36, v7
	v_fmac_f32_e32 v7, v37, v6
	v_add_f32_e32 v4, v4, v34
	ds_read_b128 v[34:37], v9 offset:144
	ds_read2_b64 v[38:41], v28 offset0:64 offset1:96
	s_waitcnt lgkmcnt(2)
	v_mul_f32_e32 v6, v31, v1
	v_fma_f32 v6, v30, v0, -v6
	v_mul_f32_e32 v1, v30, v1
	v_add_f32_e32 v5, v5, v7
	v_fmac_f32_e32 v1, v31, v0
	v_add_f32_e32 v0, v4, v6
	v_mul_f32_e32 v4, v33, v3
	v_mul_f32_e32 v3, v32, v3
	v_add_f32_e32 v1, v5, v1
	v_fma_f32 v4, v32, v2, -v4
	v_fmac_f32_e32 v3, v33, v2
	s_waitcnt lgkmcnt(0)
	v_mul_f32_e32 v2, v39, v35
	v_add_f32_e32 v0, v0, v4
	v_add_f32_e32 v1, v1, v3
	v_fma_f32 v2, v38, v34, -v2
	v_mul_f32_e32 v3, v38, v35
	v_fmac_f32_e32 v3, v39, v34
	v_add_f32_e32 v30, v0, v2
	v_mul_f32_e32 v0, v41, v37
	v_add_f32_e32 v31, v1, v3
	v_fma_f32 v32, v40, v36, -v0
	ds_read_b128 v[0:3], v9 offset:160
	ds_read2_b64 v[4:7], v28 offset0:128 offset1:160
	global_load_dwordx2 v[38:39], v[20:21], off
	v_mul_f32_e32 v33, v40, v37
	v_fmac_f32_e32 v33, v41, v36
	v_add_f32_e32 v34, v30, v32
	s_waitcnt lgkmcnt(0)
	v_mul_f32_e32 v36, v5, v1
	v_mul_f32_e32 v1, v4, v1
	v_add_f32_e32 v35, v31, v33
	v_fma_f32 v36, v4, v0, -v36
	v_fmac_f32_e32 v1, v5, v0
	ds_read_b128 v[30:33], v9 offset:176
	v_add_f32_e32 v0, v34, v36
	v_add_f32_e32 v1, v35, v1
	ds_read2_b64 v[34:37], v28 offset0:192 offset1:224
	v_mul_f32_e32 v4, v7, v3
	v_mul_f32_e32 v3, v6, v3
	v_fma_f32 v4, v6, v2, -v4
	v_fmac_f32_e32 v3, v7, v2
	s_waitcnt lgkmcnt(0)
	v_mul_f32_e32 v2, v35, v31
	v_add_f32_e32 v0, v0, v4
	v_add_f32_e32 v1, v1, v3
	v_fma_f32 v2, v34, v30, -v2
	v_mul_f32_e32 v3, v34, v31
	v_fmac_f32_e32 v3, v35, v30
	v_add_f32_e32 v30, v0, v2
	v_mul_f32_e32 v0, v37, v33
	v_add_f32_e32 v31, v1, v3
	v_fma_f32 v34, v36, v32, -v0
	ds_read_b128 v[0:3], v9 offset:192
	ds_read2_b64 v[4:7], v29 offset1:32
	v_mul_f32_e32 v33, v36, v33
	v_fmac_f32_e32 v33, v37, v32
	v_add_f32_e32 v34, v30, v34
	v_add_f32_e32 v35, v31, v33
	s_waitcnt lgkmcnt(0)
	v_mul_f32_e32 v36, v5, v1
	v_mul_f32_e32 v1, v4, v1
	v_fma_f32 v36, v4, v0, -v36
	v_fmac_f32_e32 v1, v5, v0
	ds_read_b128 v[30:33], v9 offset:208
	v_add_f32_e32 v0, v34, v36
	v_add_f32_e32 v1, v35, v1
	ds_read2_b64 v[34:37], v29 offset0:64 offset1:96
	v_mul_f32_e32 v4, v7, v3
	v_mul_f32_e32 v3, v6, v3
	v_fma_f32 v4, v6, v2, -v4
	v_fmac_f32_e32 v3, v7, v2
	s_waitcnt lgkmcnt(0)
	v_mul_f32_e32 v2, v35, v31
	v_add_f32_e32 v0, v0, v4
	v_add_f32_e32 v1, v1, v3
	v_fma_f32 v2, v34, v30, -v2
	v_mul_f32_e32 v3, v34, v31
	v_fmac_f32_e32 v3, v35, v30
	v_add_f32_e32 v30, v0, v2
	v_mul_f32_e32 v0, v37, v33
	v_add_f32_e32 v31, v1, v3
	v_fma_f32 v34, v36, v32, -v0
	ds_read_b128 v[0:3], v9 offset:224
	ds_read2_b64 v[4:7], v29 offset0:128 offset1:160
	v_mul_f32_e32 v33, v36, v33
	v_fmac_f32_e32 v33, v37, v32
	v_add_f32_e32 v34, v30, v34
	v_add_f32_e32 v35, v31, v33
	s_waitcnt lgkmcnt(0)
	v_mul_f32_e32 v36, v5, v1
	v_mul_f32_e32 v1, v4, v1
	v_fma_f32 v36, v4, v0, -v36
	v_fmac_f32_e32 v1, v5, v0
	ds_read_b128 v[30:33], v9 offset:240
	v_add_f32_e32 v0, v34, v36
	v_add_f32_e32 v1, v35, v1
	ds_read2_b64 v[34:37], v29 offset0:192 offset1:224
	v_mul_f32_e32 v4, v7, v3
	v_mul_f32_e32 v3, v6, v3
	v_fmac_f32_e32 v3, v7, v2
	v_fma_f32 v4, v6, v2, -v4
	v_add_f32_e32 v1, v1, v3
	s_waitcnt lgkmcnt(0)
	v_mul_f32_e32 v2, v35, v31
	v_mul_f32_e32 v3, v34, v31
	v_add_f32_e32 v0, v0, v4
	v_fma_f32 v2, v34, v30, -v2
	v_fmac_f32_e32 v3, v35, v30
	v_add_f32_e32 v0, v0, v2
	v_add_f32_e32 v1, v1, v3
	v_mul_f32_e32 v2, v37, v33
	v_mul_f32_e32 v3, v36, v33
	v_fma_f32 v2, v36, v32, -v2
	v_fmac_f32_e32 v3, v37, v32
	v_add_f32_e32 v0, v0, v2
	v_add_f32_e32 v2, v1, v3
	v_pk_mul_f32 v[2:3], s[12:13], v[2:3] op_sel_hi:[1,0]
	s_nop 0
	v_pk_fma_f32 v[4:5], s[34:35], v[0:1], v[2:3] neg_lo:[0,0,1] neg_hi:[0,0,1]
	v_pk_fma_f32 v[0:1], s[34:35], v[0:1], v[2:3] op_sel_hi:[1,0,1]
	s_nop 0
	v_mov_b32_e32 v5, v1
	s_waitcnt vmcnt(0)
	v_pk_add_f32 v[0:1], v[38:39], v[4:5]
	global_store_dwordx2 v[20:21], v[0:1], off
	s_branch .LBB24_6
.LBB24_21:
	s_endpgm
	.section	.rodata,"a",@progbits
	.p2align	6, 0x0
	.amdhsa_kernel _ZL24rocblas_symm_hemm_kernelILb1ELb0ELi32EPK19rocblas_complex_numIfES3_PS1_EvbiiT2_T3_lllS6_lllT4_llli
		.amdhsa_group_segment_fixed_size 16384
		.amdhsa_private_segment_fixed_size 0
		.amdhsa_kernarg_size 384
		.amdhsa_user_sgpr_count 2
		.amdhsa_user_sgpr_dispatch_ptr 0
		.amdhsa_user_sgpr_queue_ptr 0
		.amdhsa_user_sgpr_kernarg_segment_ptr 1
		.amdhsa_user_sgpr_dispatch_id 0
		.amdhsa_user_sgpr_kernarg_preload_length 0
		.amdhsa_user_sgpr_kernarg_preload_offset 0
		.amdhsa_user_sgpr_private_segment_size 0
		.amdhsa_uses_dynamic_stack 0
		.amdhsa_enable_private_segment 0
		.amdhsa_system_sgpr_workgroup_id_x 1
		.amdhsa_system_sgpr_workgroup_id_y 1
		.amdhsa_system_sgpr_workgroup_id_z 1
		.amdhsa_system_sgpr_workgroup_info 0
		.amdhsa_system_vgpr_workitem_id 1
		.amdhsa_next_free_vgpr 46
		.amdhsa_next_free_sgpr 40
		.amdhsa_accum_offset 48
		.amdhsa_reserve_vcc 1
		.amdhsa_float_round_mode_32 0
		.amdhsa_float_round_mode_16_64 0
		.amdhsa_float_denorm_mode_32 3
		.amdhsa_float_denorm_mode_16_64 3
		.amdhsa_dx10_clamp 1
		.amdhsa_ieee_mode 1
		.amdhsa_fp16_overflow 0
		.amdhsa_tg_split 0
		.amdhsa_exception_fp_ieee_invalid_op 0
		.amdhsa_exception_fp_denorm_src 0
		.amdhsa_exception_fp_ieee_div_zero 0
		.amdhsa_exception_fp_ieee_overflow 0
		.amdhsa_exception_fp_ieee_underflow 0
		.amdhsa_exception_fp_ieee_inexact 0
		.amdhsa_exception_int_div_zero 0
	.end_amdhsa_kernel
	.section	.text._ZL24rocblas_symm_hemm_kernelILb1ELb0ELi32EPK19rocblas_complex_numIfES3_PS1_EvbiiT2_T3_lllS6_lllT4_llli,"axG",@progbits,_ZL24rocblas_symm_hemm_kernelILb1ELb0ELi32EPK19rocblas_complex_numIfES3_PS1_EvbiiT2_T3_lllS6_lllT4_llli,comdat
.Lfunc_end24:
	.size	_ZL24rocblas_symm_hemm_kernelILb1ELb0ELi32EPK19rocblas_complex_numIfES3_PS1_EvbiiT2_T3_lllS6_lllT4_llli, .Lfunc_end24-_ZL24rocblas_symm_hemm_kernelILb1ELb0ELi32EPK19rocblas_complex_numIfES3_PS1_EvbiiT2_T3_lllS6_lllT4_llli
                                        ; -- End function
	.set _ZL24rocblas_symm_hemm_kernelILb1ELb0ELi32EPK19rocblas_complex_numIfES3_PS1_EvbiiT2_T3_lllS6_lllT4_llli.num_vgpr, 46
	.set _ZL24rocblas_symm_hemm_kernelILb1ELb0ELi32EPK19rocblas_complex_numIfES3_PS1_EvbiiT2_T3_lllS6_lllT4_llli.num_agpr, 0
	.set _ZL24rocblas_symm_hemm_kernelILb1ELb0ELi32EPK19rocblas_complex_numIfES3_PS1_EvbiiT2_T3_lllS6_lllT4_llli.numbered_sgpr, 40
	.set _ZL24rocblas_symm_hemm_kernelILb1ELb0ELi32EPK19rocblas_complex_numIfES3_PS1_EvbiiT2_T3_lllS6_lllT4_llli.num_named_barrier, 0
	.set _ZL24rocblas_symm_hemm_kernelILb1ELb0ELi32EPK19rocblas_complex_numIfES3_PS1_EvbiiT2_T3_lllS6_lllT4_llli.private_seg_size, 0
	.set _ZL24rocblas_symm_hemm_kernelILb1ELb0ELi32EPK19rocblas_complex_numIfES3_PS1_EvbiiT2_T3_lllS6_lllT4_llli.uses_vcc, 1
	.set _ZL24rocblas_symm_hemm_kernelILb1ELb0ELi32EPK19rocblas_complex_numIfES3_PS1_EvbiiT2_T3_lllS6_lllT4_llli.uses_flat_scratch, 0
	.set _ZL24rocblas_symm_hemm_kernelILb1ELb0ELi32EPK19rocblas_complex_numIfES3_PS1_EvbiiT2_T3_lllS6_lllT4_llli.has_dyn_sized_stack, 0
	.set _ZL24rocblas_symm_hemm_kernelILb1ELb0ELi32EPK19rocblas_complex_numIfES3_PS1_EvbiiT2_T3_lllS6_lllT4_llli.has_recursion, 0
	.set _ZL24rocblas_symm_hemm_kernelILb1ELb0ELi32EPK19rocblas_complex_numIfES3_PS1_EvbiiT2_T3_lllS6_lllT4_llli.has_indirect_call, 0
	.section	.AMDGPU.csdata,"",@progbits
; Kernel info:
; codeLenInByte = 2228
; TotalNumSgprs: 46
; NumVgprs: 46
; NumAgprs: 0
; TotalNumVgprs: 46
; ScratchSize: 0
; MemoryBound: 0
; FloatMode: 240
; IeeeMode: 1
; LDSByteSize: 16384 bytes/workgroup (compile time only)
; SGPRBlocks: 5
; VGPRBlocks: 5
; NumSGPRsForWavesPerEU: 46
; NumVGPRsForWavesPerEU: 46
; AccumOffset: 48
; Occupancy: 8
; WaveLimiterHint : 0
; COMPUTE_PGM_RSRC2:SCRATCH_EN: 0
; COMPUTE_PGM_RSRC2:USER_SGPR: 2
; COMPUTE_PGM_RSRC2:TRAP_HANDLER: 0
; COMPUTE_PGM_RSRC2:TGID_X_EN: 1
; COMPUTE_PGM_RSRC2:TGID_Y_EN: 1
; COMPUTE_PGM_RSRC2:TGID_Z_EN: 1
; COMPUTE_PGM_RSRC2:TIDIG_COMP_CNT: 1
; COMPUTE_PGM_RSRC3_GFX90A:ACCUM_OFFSET: 11
; COMPUTE_PGM_RSRC3_GFX90A:TG_SPLIT: 0
	.section	.text._ZL24rocblas_symm_hemm_kernelILb1ELb1ELi32EPK19rocblas_complex_numIfES3_PS1_EvbiiT2_T3_lllS6_lllT4_llli,"axG",@progbits,_ZL24rocblas_symm_hemm_kernelILb1ELb1ELi32EPK19rocblas_complex_numIfES3_PS1_EvbiiT2_T3_lllS6_lllT4_llli,comdat
	.globl	_ZL24rocblas_symm_hemm_kernelILb1ELb1ELi32EPK19rocblas_complex_numIfES3_PS1_EvbiiT2_T3_lllS6_lllT4_llli ; -- Begin function _ZL24rocblas_symm_hemm_kernelILb1ELb1ELi32EPK19rocblas_complex_numIfES3_PS1_EvbiiT2_T3_lllS6_lllT4_llli
	.p2align	8
	.type	_ZL24rocblas_symm_hemm_kernelILb1ELb1ELi32EPK19rocblas_complex_numIfES3_PS1_EvbiiT2_T3_lllS6_lllT4_llli,@function
_ZL24rocblas_symm_hemm_kernelILb1ELb1ELi32EPK19rocblas_complex_numIfES3_PS1_EvbiiT2_T3_lllS6_lllT4_llli: ; @_ZL24rocblas_symm_hemm_kernelILb1ELb1ELi32EPK19rocblas_complex_numIfES3_PS1_EvbiiT2_T3_lllS6_lllT4_llli
; %bb.0:
	s_load_dwordx16 s[8:23], s[0:1], 0x10
	s_waitcnt lgkmcnt(0)
	s_load_dwordx2 s[34:35], s[8:9], 0x0
	s_waitcnt lgkmcnt(0)
	v_cmp_eq_f32_e64 s[6:7], s34, 0
	v_cmp_eq_f32_e64 s[8:9], s35, 0
	s_and_b64 s[6:7], s[6:7], s[8:9]
	s_and_b64 vcc, exec, s[6:7]
	s_cbranch_vccnz .LBB25_21
; %bb.1:
	s_load_dwordx4 s[36:39], s[0:1], 0x0
	s_waitcnt lgkmcnt(0)
	s_add_i32 s5, s38, -1
	s_ashr_i32 s6, s5, 31
	s_lshr_b32 s6, s6, 27
	s_add_i32 s5, s5, s6
	s_ashr_i32 s33, s5, 5
	s_cmp_gt_i32 s3, s33
	s_cbranch_scc1 .LBB25_21
; %bb.2:
	s_mul_i32 s5, s17, s4
	s_mul_hi_u32 s6, s16, s4
	s_add_i32 s7, s6, s5
	s_mul_i32 s6, s16, s4
	s_lshl_b64 s[6:7], s[6:7], 3
	s_add_u32 s5, s10, s6
	s_addc_u32 s8, s11, s7
	s_lshl_b64 s[6:7], s[12:13], 3
	s_add_u32 s10, s5, s6
	s_addc_u32 s11, s8, s7
	s_load_dwordx2 s[8:9], s[0:1], 0x70
	s_bitcmp1_b32 s36, 0
	s_load_dwordx8 s[24:31], s[0:1], 0x50
	s_load_dword s36, s[0:1], 0x84
	s_cselect_b64 s[6:7], -1, 0
	v_and_b32_e32 v22, 0x3ff, v0
	s_waitcnt lgkmcnt(0)
	s_mul_i32 s0, s9, s4
	s_mul_hi_u32 s1, s8, s4
	s_add_i32 s1, s1, s0
	s_mul_i32 s0, s8, s4
	s_lshl_b64 s[0:1], s[0:1], 3
	s_add_u32 s5, s26, s0
	s_addc_u32 s9, s27, s1
	s_lshl_b64 s[0:1], s[28:29], 3
	s_add_u32 s8, s5, s0
	s_addc_u32 s9, s9, s1
	s_mul_i32 s0, s25, s4
	s_mul_hi_u32 s1, s24, s4
	s_add_i32 s1, s1, s0
	s_mul_i32 s0, s24, s4
	s_lshl_b64 s[0:1], s[0:1], 3
	s_add_u32 s4, s18, s0
	s_addc_u32 s5, s19, s1
	s_lshl_b64 s[0:1], s[20:21], 3
	s_add_u32 s4, s4, s0
	v_lshl_add_u32 v2, s2, 5, v22
	s_addc_u32 s5, s5, s1
	v_ashrrev_i32_e32 v3, 31, v2
	v_bfe_u32 v23, v0, 10, 10
	s_cmp_gt_i32 s38, 0
	v_lshlrev_b64 v[0:1], 3, v[2:3]
	s_cselect_b64 s[16:17], -1, 0
	v_cmp_gt_i32_e64 s[0:1], s37, v2
	v_lshl_add_u64 v[8:9], s[4:5], 0, v[0:1]
	v_lshlrev_b32_e32 v2, 3, v23
	v_lshl_add_u64 v[10:11], s[8:9], 0, v[0:1]
	v_lshl_add_u32 v0, s3, 5, v23
	v_lshlrev_b32_e32 v24, 8, v22
	v_or_b32_e32 v26, 0x2000, v2
	v_sub_u32_e32 v28, 0, v0
	v_cndmask_b32_e64 v0, 0, 1, s[16:17]
	v_add_u32_e32 v25, v24, v2
	v_add_u32_e32 v27, v26, v24
	s_mov_b32 s12, s35
	s_mov_b32 s13, s34
	s_lshl_b32 s2, s36, 5
	v_cmp_ne_u32_e64 s[4:5], 1, v0
	v_add_u32_e32 v29, 0x800, v26
	v_add_u32_e32 v30, 0x1000, v26
	v_add_u32_e32 v31, 0x1800, v26
	s_branch .LBB25_4
.LBB25_3:                               ;   in Loop: Header=BB25_4 Depth=1
	s_add_i32 s3, s3, s36
	s_cmp_gt_i32 s3, s33
	v_subrev_u32_e32 v28, s2, v28
	s_cbranch_scc1 .LBB25_21
.LBB25_4:                               ; =>This Loop Header: Depth=1
                                        ;     Child Loop BB25_7 Depth 2
	s_and_b64 vcc, exec, s[4:5]
	s_cbranch_vccnz .LBB25_3
; %bb.5:                                ;   in Loop: Header=BB25_4 Depth=1
	v_lshl_add_u32 v12, s3, 5, v23
	v_ashrrev_i32_e32 v13, 31, v12
	v_mul_lo_u32 v2, s14, v13
	v_mul_lo_u32 v3, s15, v12
	v_mad_u64_u32 v[0:1], s[8:9], s14, v12, 0
	v_add3_u32 v1, v1, v2, v3
	v_mul_lo_u32 v4, s30, v13
	v_mul_lo_u32 v5, s31, v12
	v_mad_u64_u32 v[2:3], s[8:9], s30, v12, 0
	v_lshl_add_u64 v[14:15], v[0:1], 3, s[10:11]
	v_lshlrev_b64 v[0:1], 3, v[12:13]
	v_cmp_gt_i32_e32 vcc, s38, v12
	v_add3_u32 v3, v3, v4, v5
	v_lshl_add_u64 v[16:17], s[10:11], 0, v[0:1]
	s_and_b64 s[16:17], s[0:1], vcc
	v_lshl_add_u64 v[18:19], v[2:3], 3, v[10:11]
	v_lshl_add_u64 v[20:21], v[14:15], 0, v[0:1]
	v_add_u32_e32 v13, v22, v28
	s_mov_b32 s24, 0
	s_branch .LBB25_7
.LBB25_6:                               ;   in Loop: Header=BB25_7 Depth=2
	s_or_b64 exec, exec, s[8:9]
	s_add_i32 s24, s24, 32
	s_cmp_ge_i32 s24, s38
	s_barrier
	s_cbranch_scc1 .LBB25_3
.LBB25_7:                               ;   Parent Loop BB25_4 Depth=1
                                        ; =>  This Inner Loop Header: Depth=2
	v_add_u32_e32 v1, s24, v23
	v_cmp_gt_i32_e32 vcc, s38, v1
	s_and_b64 s[18:19], s[0:1], vcc
	v_mov_b32_e32 v0, 0
	v_mov_b32_e32 v2, 0
	;; [unrolled: 1-line block ×3, first 2 shown]
	s_and_saveexec_b64 s[8:9], s[18:19]
	s_cbranch_execz .LBB25_9
; %bb.8:                                ;   in Loop: Header=BB25_7 Depth=2
	v_ashrrev_i32_e32 v2, 31, v1
	v_mul_lo_u32 v4, s23, v1
	v_mul_lo_u32 v5, s22, v2
	v_mad_u64_u32 v[2:3], s[18:19], s22, v1, 0
	v_add3_u32 v3, v3, v5, v4
	v_lshl_add_u64 v[2:3], v[2:3], 3, v[8:9]
	global_load_dwordx2 v[2:3], v[2:3], off
.LBB25_9:                               ;   in Loop: Header=BB25_7 Depth=2
	s_or_b64 exec, exec, s[8:9]
	s_waitcnt vmcnt(0)
	ds_write_b64 v25, v[2:3]
	v_add_u32_e32 v2, s24, v22
	v_cndmask_b32_e64 v1, v12, v2, s[6:7]
	v_cndmask_b32_e64 v3, v2, v12, s[6:7]
	v_cmp_gt_i32_e64 s[8:9], v1, v3
	v_cmp_le_i32_e32 vcc, v1, v3
	s_nop 0
	v_cndmask_b32_e64 v1, v2, v12, s[8:9]
	v_cndmask_b32_e64 v3, v12, v2, s[8:9]
	v_max_i32_e32 v1, v1, v3
	v_cmp_gt_i32_e64 s[8:9], s38, v1
	v_mov_b32_e32 v1, 0
	s_and_saveexec_b64 s[18:19], s[8:9]
	s_cbranch_execz .LBB25_19
; %bb.10:                               ;   in Loop: Header=BB25_7 Depth=2
                                        ; implicit-def: $vgpr1
	s_and_saveexec_b64 s[8:9], vcc
	s_xor_b64 s[8:9], exec, s[8:9]
	s_cbranch_execz .LBB25_16
; %bb.11:                               ;   in Loop: Header=BB25_7 Depth=2
	v_add_u32_e32 v0, s24, v13
	v_cmp_ne_u32_e32 vcc, 0, v0
                                        ; implicit-def: $vgpr1
	s_and_saveexec_b64 s[20:21], vcc
	s_xor_b64 s[20:21], exec, s[20:21]
	s_cbranch_execz .LBB25_13
; %bb.12:                               ;   in Loop: Header=BB25_7 Depth=2
	v_ashrrev_i32_e32 v3, 31, v2
	v_lshl_add_u64 v[0:1], v[2:3], 3, v[14:15]
	global_load_dwordx2 v[0:1], v[0:1], off
.LBB25_13:                              ;   in Loop: Header=BB25_7 Depth=2
	s_andn2_saveexec_b64 s[20:21], s[20:21]
	s_cbranch_execz .LBB25_15
; %bb.14:                               ;   in Loop: Header=BB25_7 Depth=2
	global_load_dword v0, v[20:21], off
	s_waitcnt vmcnt(1)
	v_mov_b32_e32 v1, 0
.LBB25_15:                              ;   in Loop: Header=BB25_7 Depth=2
	s_or_b64 exec, exec, s[20:21]
                                        ; implicit-def: $vgpr2
.LBB25_16:                              ;   in Loop: Header=BB25_7 Depth=2
	s_andn2_saveexec_b64 s[8:9], s[8:9]
	s_cbranch_execz .LBB25_18
; %bb.17:                               ;   in Loop: Header=BB25_7 Depth=2
	s_waitcnt vmcnt(0)
	v_ashrrev_i32_e32 v0, 31, v2
	v_mul_lo_u32 v3, s15, v2
	v_mul_lo_u32 v4, s14, v0
	v_mad_u64_u32 v[0:1], s[20:21], s14, v2, 0
	v_add3_u32 v1, v1, v4, v3
	v_lshl_add_u64 v[0:1], v[0:1], 3, v[16:17]
	global_load_dwordx2 v[0:1], v[0:1], off
	s_waitcnt vmcnt(0)
	v_xor_b32_e32 v1, 0x80000000, v1
.LBB25_18:                              ;   in Loop: Header=BB25_7 Depth=2
	s_or_b64 exec, exec, s[8:9]
.LBB25_19:                              ;   in Loop: Header=BB25_7 Depth=2
	s_or_b64 exec, exec, s[18:19]
	s_waitcnt vmcnt(0)
	ds_write_b64 v27, v[0:1]
	s_waitcnt lgkmcnt(0)
	s_barrier
	s_and_saveexec_b64 s[8:9], s[16:17]
	s_cbranch_execz .LBB25_6
; %bb.20:                               ;   in Loop: Header=BB25_7 Depth=2
	ds_read2_b64 v[0:3], v26 offset1:32
	ds_read_b128 v[4:7], v24
	ds_read_b128 v[32:35], v24 offset:16
	ds_read_b128 v[36:39], v24 offset:32
	;; [unrolled: 1-line block ×3, first 2 shown]
	s_waitcnt lgkmcnt(3)
	v_mul_f32_e32 v44, v1, v5
	v_fma_f32 v44, v0, v4, -v44
	v_mul_f32_e32 v0, v0, v5
	v_fmac_f32_e32 v0, v1, v4
	v_add_f32_e32 v1, 0, v44
	ds_read2_b64 v[44:47], v26 offset0:64 offset1:96
	v_mul_f32_e32 v4, v3, v7
	v_fma_f32 v4, v2, v6, -v4
	v_mul_f32_e32 v2, v2, v7
	v_add_f32_e32 v0, 0, v0
	v_fmac_f32_e32 v2, v3, v6
	s_waitcnt lgkmcnt(0)
	v_mul_f32_e32 v3, v44, v33
	v_add_f32_e32 v0, v0, v2
	v_mul_f32_e32 v2, v45, v33
	v_fmac_f32_e32 v3, v45, v32
	v_add_f32_e32 v1, v1, v4
	v_fma_f32 v2, v44, v32, -v2
	v_add_f32_e32 v5, v0, v3
	v_mul_f32_e32 v0, v47, v35
	v_add_f32_e32 v4, v1, v2
	v_fma_f32 v6, v46, v34, -v0
	ds_read2_b64 v[0:3], v26 offset0:128 offset1:160
	v_mul_f32_e32 v7, v46, v35
	v_add_f32_e32 v4, v4, v6
	v_fmac_f32_e32 v7, v47, v34
	v_add_f32_e32 v5, v5, v7
	s_waitcnt lgkmcnt(0)
	v_mul_f32_e32 v6, v1, v37
	v_fma_f32 v6, v0, v36, -v6
	v_mul_f32_e32 v0, v0, v37
	v_fmac_f32_e32 v0, v1, v36
	v_add_f32_e32 v1, v4, v6
	v_mul_f32_e32 v4, v3, v39
	v_add_f32_e32 v0, v5, v0
	v_fma_f32 v32, v2, v38, -v4
	ds_read2_b64 v[4:7], v26 offset0:192 offset1:224
	v_mul_f32_e32 v2, v2, v39
	v_fmac_f32_e32 v2, v3, v38
	v_add_f32_e32 v0, v0, v2
	v_add_f32_e32 v1, v1, v32
	s_waitcnt lgkmcnt(0)
	v_mul_f32_e32 v3, v4, v41
	v_mul_f32_e32 v2, v5, v41
	v_fmac_f32_e32 v3, v5, v40
	v_fma_f32 v2, v4, v40, -v2
	v_add_f32_e32 v5, v0, v3
	v_mul_f32_e32 v0, v7, v43
	v_add_f32_e32 v4, v1, v2
	v_fma_f32 v36, v6, v42, -v0
	ds_read_b128 v[0:3], v24 offset:64
	ds_read2_b64 v[32:35], v29 offset1:32
	v_mul_f32_e32 v6, v6, v43
	v_fmac_f32_e32 v6, v7, v42
	v_add_f32_e32 v36, v4, v36
	v_add_f32_e32 v37, v5, v6
	s_waitcnt lgkmcnt(0)
	v_mul_f32_e32 v38, v33, v1
	v_mul_f32_e32 v1, v32, v1
	v_fma_f32 v38, v32, v0, -v38
	v_fmac_f32_e32 v1, v33, v0
	ds_read_b128 v[4:7], v24 offset:80
	v_add_f32_e32 v0, v36, v38
	v_add_f32_e32 v1, v37, v1
	ds_read2_b64 v[36:39], v29 offset0:64 offset1:96
	v_mul_f32_e32 v32, v35, v3
	v_mul_f32_e32 v3, v34, v3
	v_fma_f32 v32, v34, v2, -v32
	v_fmac_f32_e32 v3, v35, v2
	s_waitcnt lgkmcnt(0)
	v_mul_f32_e32 v2, v37, v5
	v_add_f32_e32 v0, v0, v32
	v_add_f32_e32 v1, v1, v3
	v_fma_f32 v2, v36, v4, -v2
	v_mul_f32_e32 v3, v36, v5
	v_fmac_f32_e32 v3, v37, v4
	v_add_f32_e32 v4, v0, v2
	v_mul_f32_e32 v0, v39, v7
	v_add_f32_e32 v5, v1, v3
	v_fma_f32 v36, v38, v6, -v0
	ds_read_b128 v[0:3], v24 offset:96
	ds_read2_b64 v[32:35], v29 offset0:128 offset1:160
	v_mul_f32_e32 v7, v38, v7
	v_fmac_f32_e32 v7, v39, v6
	v_add_f32_e32 v36, v4, v36
	v_add_f32_e32 v37, v5, v7
	s_waitcnt lgkmcnt(0)
	v_mul_f32_e32 v38, v33, v1
	v_mul_f32_e32 v1, v32, v1
	v_fma_f32 v38, v32, v0, -v38
	v_fmac_f32_e32 v1, v33, v0
	ds_read_b128 v[4:7], v24 offset:112
	v_add_f32_e32 v0, v36, v38
	v_add_f32_e32 v1, v37, v1
	ds_read2_b64 v[36:39], v29 offset0:192 offset1:224
	v_mul_f32_e32 v32, v35, v3
	v_mul_f32_e32 v3, v34, v3
	v_fma_f32 v32, v34, v2, -v32
	v_fmac_f32_e32 v3, v35, v2
	s_waitcnt lgkmcnt(0)
	v_mul_f32_e32 v2, v37, v5
	v_add_f32_e32 v0, v0, v32
	v_add_f32_e32 v1, v1, v3
	v_fma_f32 v2, v36, v4, -v2
	v_mul_f32_e32 v3, v36, v5
	v_fmac_f32_e32 v3, v37, v4
	v_add_f32_e32 v4, v0, v2
	v_mul_f32_e32 v0, v39, v7
	v_add_f32_e32 v5, v1, v3
	v_fma_f32 v36, v38, v6, -v0
	ds_read_b128 v[0:3], v24 offset:128
	ds_read2_b64 v[32:35], v30 offset1:32
	v_mul_f32_e32 v7, v38, v7
	v_fmac_f32_e32 v7, v39, v6
	v_add_f32_e32 v4, v4, v36
	ds_read_b128 v[36:39], v24 offset:144
	ds_read2_b64 v[40:43], v30 offset0:64 offset1:96
	s_waitcnt lgkmcnt(2)
	v_mul_f32_e32 v6, v33, v1
	v_fma_f32 v6, v32, v0, -v6
	v_mul_f32_e32 v1, v32, v1
	v_add_f32_e32 v5, v5, v7
	v_fmac_f32_e32 v1, v33, v0
	v_add_f32_e32 v0, v4, v6
	v_mul_f32_e32 v4, v35, v3
	v_mul_f32_e32 v3, v34, v3
	v_add_f32_e32 v1, v5, v1
	v_fma_f32 v4, v34, v2, -v4
	v_fmac_f32_e32 v3, v35, v2
	s_waitcnt lgkmcnt(0)
	v_mul_f32_e32 v2, v41, v37
	v_add_f32_e32 v0, v0, v4
	v_add_f32_e32 v1, v1, v3
	v_fma_f32 v2, v40, v36, -v2
	v_mul_f32_e32 v3, v40, v37
	v_fmac_f32_e32 v3, v41, v36
	v_add_f32_e32 v32, v0, v2
	v_mul_f32_e32 v0, v43, v39
	v_add_f32_e32 v33, v1, v3
	v_fma_f32 v34, v42, v38, -v0
	ds_read_b128 v[0:3], v24 offset:160
	ds_read2_b64 v[4:7], v30 offset0:128 offset1:160
	global_load_dwordx2 v[40:41], v[18:19], off
	v_mul_f32_e32 v35, v42, v39
	v_fmac_f32_e32 v35, v43, v38
	v_add_f32_e32 v36, v32, v34
	s_waitcnt lgkmcnt(0)
	v_mul_f32_e32 v38, v5, v1
	v_mul_f32_e32 v1, v4, v1
	v_add_f32_e32 v37, v33, v35
	v_fma_f32 v38, v4, v0, -v38
	v_fmac_f32_e32 v1, v5, v0
	ds_read_b128 v[32:35], v24 offset:176
	v_add_f32_e32 v0, v36, v38
	v_add_f32_e32 v1, v37, v1
	ds_read2_b64 v[36:39], v30 offset0:192 offset1:224
	v_mul_f32_e32 v4, v7, v3
	v_mul_f32_e32 v3, v6, v3
	v_fma_f32 v4, v6, v2, -v4
	v_fmac_f32_e32 v3, v7, v2
	s_waitcnt lgkmcnt(0)
	v_mul_f32_e32 v2, v37, v33
	v_add_f32_e32 v0, v0, v4
	v_add_f32_e32 v1, v1, v3
	v_fma_f32 v2, v36, v32, -v2
	v_mul_f32_e32 v3, v36, v33
	v_fmac_f32_e32 v3, v37, v32
	v_add_f32_e32 v32, v0, v2
	v_mul_f32_e32 v0, v39, v35
	v_add_f32_e32 v33, v1, v3
	v_fma_f32 v36, v38, v34, -v0
	ds_read_b128 v[0:3], v24 offset:192
	ds_read2_b64 v[4:7], v31 offset1:32
	v_mul_f32_e32 v35, v38, v35
	v_fmac_f32_e32 v35, v39, v34
	v_add_f32_e32 v36, v32, v36
	v_add_f32_e32 v37, v33, v35
	s_waitcnt lgkmcnt(0)
	v_mul_f32_e32 v38, v5, v1
	v_mul_f32_e32 v1, v4, v1
	v_fma_f32 v38, v4, v0, -v38
	v_fmac_f32_e32 v1, v5, v0
	ds_read_b128 v[32:35], v24 offset:208
	v_add_f32_e32 v0, v36, v38
	v_add_f32_e32 v1, v37, v1
	ds_read2_b64 v[36:39], v31 offset0:64 offset1:96
	v_mul_f32_e32 v4, v7, v3
	v_mul_f32_e32 v3, v6, v3
	v_fma_f32 v4, v6, v2, -v4
	v_fmac_f32_e32 v3, v7, v2
	s_waitcnt lgkmcnt(0)
	v_mul_f32_e32 v2, v37, v33
	v_add_f32_e32 v0, v0, v4
	v_add_f32_e32 v1, v1, v3
	v_fma_f32 v2, v36, v32, -v2
	v_mul_f32_e32 v3, v36, v33
	v_fmac_f32_e32 v3, v37, v32
	v_add_f32_e32 v32, v0, v2
	v_mul_f32_e32 v0, v39, v35
	v_add_f32_e32 v33, v1, v3
	v_fma_f32 v36, v38, v34, -v0
	ds_read_b128 v[0:3], v24 offset:224
	ds_read2_b64 v[4:7], v31 offset0:128 offset1:160
	v_mul_f32_e32 v35, v38, v35
	v_fmac_f32_e32 v35, v39, v34
	v_add_f32_e32 v36, v32, v36
	v_add_f32_e32 v37, v33, v35
	s_waitcnt lgkmcnt(0)
	v_mul_f32_e32 v38, v5, v1
	v_mul_f32_e32 v1, v4, v1
	v_fma_f32 v38, v4, v0, -v38
	v_fmac_f32_e32 v1, v5, v0
	ds_read_b128 v[32:35], v24 offset:240
	v_add_f32_e32 v0, v36, v38
	v_add_f32_e32 v1, v37, v1
	ds_read2_b64 v[36:39], v31 offset0:192 offset1:224
	v_mul_f32_e32 v4, v7, v3
	v_mul_f32_e32 v3, v6, v3
	v_fmac_f32_e32 v3, v7, v2
	v_fma_f32 v4, v6, v2, -v4
	v_add_f32_e32 v1, v1, v3
	s_waitcnt lgkmcnt(0)
	v_mul_f32_e32 v2, v37, v33
	v_mul_f32_e32 v3, v36, v33
	v_add_f32_e32 v0, v0, v4
	v_fma_f32 v2, v36, v32, -v2
	v_fmac_f32_e32 v3, v37, v32
	v_add_f32_e32 v0, v0, v2
	v_add_f32_e32 v1, v1, v3
	v_mul_f32_e32 v2, v39, v35
	v_mul_f32_e32 v3, v38, v35
	v_fma_f32 v2, v38, v34, -v2
	v_fmac_f32_e32 v3, v39, v34
	v_add_f32_e32 v0, v0, v2
	v_add_f32_e32 v2, v1, v3
	v_pk_mul_f32 v[2:3], s[12:13], v[2:3] op_sel_hi:[1,0]
	s_nop 0
	v_pk_fma_f32 v[4:5], s[34:35], v[0:1], v[2:3] neg_lo:[0,0,1] neg_hi:[0,0,1]
	v_pk_fma_f32 v[0:1], s[34:35], v[0:1], v[2:3] op_sel_hi:[1,0,1]
	s_nop 0
	v_mov_b32_e32 v5, v1
	s_waitcnt vmcnt(0)
	v_pk_add_f32 v[0:1], v[40:41], v[4:5]
	global_store_dwordx2 v[18:19], v[0:1], off
	s_branch .LBB25_6
.LBB25_21:
	s_endpgm
	.section	.rodata,"a",@progbits
	.p2align	6, 0x0
	.amdhsa_kernel _ZL24rocblas_symm_hemm_kernelILb1ELb1ELi32EPK19rocblas_complex_numIfES3_PS1_EvbiiT2_T3_lllS6_lllT4_llli
		.amdhsa_group_segment_fixed_size 16384
		.amdhsa_private_segment_fixed_size 0
		.amdhsa_kernarg_size 384
		.amdhsa_user_sgpr_count 2
		.amdhsa_user_sgpr_dispatch_ptr 0
		.amdhsa_user_sgpr_queue_ptr 0
		.amdhsa_user_sgpr_kernarg_segment_ptr 1
		.amdhsa_user_sgpr_dispatch_id 0
		.amdhsa_user_sgpr_kernarg_preload_length 0
		.amdhsa_user_sgpr_kernarg_preload_offset 0
		.amdhsa_user_sgpr_private_segment_size 0
		.amdhsa_uses_dynamic_stack 0
		.amdhsa_enable_private_segment 0
		.amdhsa_system_sgpr_workgroup_id_x 1
		.amdhsa_system_sgpr_workgroup_id_y 1
		.amdhsa_system_sgpr_workgroup_id_z 1
		.amdhsa_system_sgpr_workgroup_info 0
		.amdhsa_system_vgpr_workitem_id 1
		.amdhsa_next_free_vgpr 48
		.amdhsa_next_free_sgpr 40
		.amdhsa_accum_offset 48
		.amdhsa_reserve_vcc 1
		.amdhsa_float_round_mode_32 0
		.amdhsa_float_round_mode_16_64 0
		.amdhsa_float_denorm_mode_32 3
		.amdhsa_float_denorm_mode_16_64 3
		.amdhsa_dx10_clamp 1
		.amdhsa_ieee_mode 1
		.amdhsa_fp16_overflow 0
		.amdhsa_tg_split 0
		.amdhsa_exception_fp_ieee_invalid_op 0
		.amdhsa_exception_fp_denorm_src 0
		.amdhsa_exception_fp_ieee_div_zero 0
		.amdhsa_exception_fp_ieee_overflow 0
		.amdhsa_exception_fp_ieee_underflow 0
		.amdhsa_exception_fp_ieee_inexact 0
		.amdhsa_exception_int_div_zero 0
	.end_amdhsa_kernel
	.section	.text._ZL24rocblas_symm_hemm_kernelILb1ELb1ELi32EPK19rocblas_complex_numIfES3_PS1_EvbiiT2_T3_lllS6_lllT4_llli,"axG",@progbits,_ZL24rocblas_symm_hemm_kernelILb1ELb1ELi32EPK19rocblas_complex_numIfES3_PS1_EvbiiT2_T3_lllS6_lllT4_llli,comdat
.Lfunc_end25:
	.size	_ZL24rocblas_symm_hemm_kernelILb1ELb1ELi32EPK19rocblas_complex_numIfES3_PS1_EvbiiT2_T3_lllS6_lllT4_llli, .Lfunc_end25-_ZL24rocblas_symm_hemm_kernelILb1ELb1ELi32EPK19rocblas_complex_numIfES3_PS1_EvbiiT2_T3_lllS6_lllT4_llli
                                        ; -- End function
	.set _ZL24rocblas_symm_hemm_kernelILb1ELb1ELi32EPK19rocblas_complex_numIfES3_PS1_EvbiiT2_T3_lllS6_lllT4_llli.num_vgpr, 48
	.set _ZL24rocblas_symm_hemm_kernelILb1ELb1ELi32EPK19rocblas_complex_numIfES3_PS1_EvbiiT2_T3_lllS6_lllT4_llli.num_agpr, 0
	.set _ZL24rocblas_symm_hemm_kernelILb1ELb1ELi32EPK19rocblas_complex_numIfES3_PS1_EvbiiT2_T3_lllS6_lllT4_llli.numbered_sgpr, 40
	.set _ZL24rocblas_symm_hemm_kernelILb1ELb1ELi32EPK19rocblas_complex_numIfES3_PS1_EvbiiT2_T3_lllS6_lllT4_llli.num_named_barrier, 0
	.set _ZL24rocblas_symm_hemm_kernelILb1ELb1ELi32EPK19rocblas_complex_numIfES3_PS1_EvbiiT2_T3_lllS6_lllT4_llli.private_seg_size, 0
	.set _ZL24rocblas_symm_hemm_kernelILb1ELb1ELi32EPK19rocblas_complex_numIfES3_PS1_EvbiiT2_T3_lllS6_lllT4_llli.uses_vcc, 1
	.set _ZL24rocblas_symm_hemm_kernelILb1ELb1ELi32EPK19rocblas_complex_numIfES3_PS1_EvbiiT2_T3_lllS6_lllT4_llli.uses_flat_scratch, 0
	.set _ZL24rocblas_symm_hemm_kernelILb1ELb1ELi32EPK19rocblas_complex_numIfES3_PS1_EvbiiT2_T3_lllS6_lllT4_llli.has_dyn_sized_stack, 0
	.set _ZL24rocblas_symm_hemm_kernelILb1ELb1ELi32EPK19rocblas_complex_numIfES3_PS1_EvbiiT2_T3_lllS6_lllT4_llli.has_recursion, 0
	.set _ZL24rocblas_symm_hemm_kernelILb1ELb1ELi32EPK19rocblas_complex_numIfES3_PS1_EvbiiT2_T3_lllS6_lllT4_llli.has_indirect_call, 0
	.section	.AMDGPU.csdata,"",@progbits
; Kernel info:
; codeLenInByte = 2244
; TotalNumSgprs: 46
; NumVgprs: 48
; NumAgprs: 0
; TotalNumVgprs: 48
; ScratchSize: 0
; MemoryBound: 0
; FloatMode: 240
; IeeeMode: 1
; LDSByteSize: 16384 bytes/workgroup (compile time only)
; SGPRBlocks: 5
; VGPRBlocks: 5
; NumSGPRsForWavesPerEU: 46
; NumVGPRsForWavesPerEU: 48
; AccumOffset: 48
; Occupancy: 8
; WaveLimiterHint : 0
; COMPUTE_PGM_RSRC2:SCRATCH_EN: 0
; COMPUTE_PGM_RSRC2:USER_SGPR: 2
; COMPUTE_PGM_RSRC2:TRAP_HANDLER: 0
; COMPUTE_PGM_RSRC2:TGID_X_EN: 1
; COMPUTE_PGM_RSRC2:TGID_Y_EN: 1
; COMPUTE_PGM_RSRC2:TGID_Z_EN: 1
; COMPUTE_PGM_RSRC2:TIDIG_COMP_CNT: 1
; COMPUTE_PGM_RSRC3_GFX90A:ACCUM_OFFSET: 11
; COMPUTE_PGM_RSRC3_GFX90A:TG_SPLIT: 0
	.section	.text._ZL24rocblas_symm_hemm_kernelILb1ELb0ELi32E19rocblas_complex_numIfEPKS1_PS1_EvbiiT2_T3_lllS6_lllT4_llli,"axG",@progbits,_ZL24rocblas_symm_hemm_kernelILb1ELb0ELi32E19rocblas_complex_numIfEPKS1_PS1_EvbiiT2_T3_lllS6_lllT4_llli,comdat
	.globl	_ZL24rocblas_symm_hemm_kernelILb1ELb0ELi32E19rocblas_complex_numIfEPKS1_PS1_EvbiiT2_T3_lllS6_lllT4_llli ; -- Begin function _ZL24rocblas_symm_hemm_kernelILb1ELb0ELi32E19rocblas_complex_numIfEPKS1_PS1_EvbiiT2_T3_lllS6_lllT4_llli
	.p2align	8
	.type	_ZL24rocblas_symm_hemm_kernelILb1ELb0ELi32E19rocblas_complex_numIfEPKS1_PS1_EvbiiT2_T3_lllS6_lllT4_llli,@function
_ZL24rocblas_symm_hemm_kernelILb1ELb0ELi32E19rocblas_complex_numIfEPKS1_PS1_EvbiiT2_T3_lllS6_lllT4_llli: ; @_ZL24rocblas_symm_hemm_kernelILb1ELb0ELi32E19rocblas_complex_numIfEPKS1_PS1_EvbiiT2_T3_lllS6_lllT4_llli
; %bb.0:
	s_load_dwordx4 s[36:39], s[0:1], 0x0
	s_load_dword s35, s[0:1], 0x10
	s_waitcnt lgkmcnt(0)
	v_cmp_eq_f32_e64 s[6:7], s39, 0
	v_cmp_eq_f32_e64 s[8:9], s35, 0
	s_and_b64 s[6:7], s[6:7], s[8:9]
	s_and_b64 vcc, exec, s[6:7]
	s_cbranch_vccnz .LBB26_21
; %bb.1:
	s_add_i32 s5, s38, -1
	s_ashr_i32 s6, s5, 31
	s_lshr_b32 s6, s6, 27
	s_add_i32 s5, s5, s6
	s_ashr_i32 s33, s5, 5
	s_cmp_gt_i32 s3, s33
	s_cbranch_scc1 .LBB26_21
; %bb.2:
	s_load_dwordx16 s[8:23], s[0:1], 0x18
	s_load_dwordx8 s[24:31], s[0:1], 0x58
	v_and_b32_e32 v22, 0x3ff, v0
	v_lshl_add_u32 v8, s2, 5, v22
	v_ashrrev_i32_e32 v9, 31, v8
	s_waitcnt lgkmcnt(0)
	s_mul_i32 s5, s23, s4
	s_mul_hi_u32 s7, s22, s4
	s_mul_i32 s6, s22, s4
	s_add_i32 s7, s7, s5
	s_lshl_b64 s[6:7], s[6:7], 3
	s_add_u32 s5, s16, s6
	s_addc_u32 s17, s17, s7
	s_lshl_b64 s[6:7], s[18:19], 3
	s_add_u32 s16, s5, s6
	s_addc_u32 s17, s17, s7
	s_bitcmp1_b32 s36, 0
	s_mul_i32 s5, s31, s4
	s_mul_hi_u32 s18, s30, s4
	s_cselect_b64 s[6:7], -1, 0
	s_add_i32 s19, s18, s5
	s_mul_i32 s18, s30, s4
	s_lshl_b64 s[18:19], s[18:19], 3
	s_add_u32 s5, s24, s18
	s_addc_u32 s22, s25, s19
	s_lshl_b64 s[18:19], s[26:27], 3
	s_add_u32 s18, s5, s18
	s_mul_i32 s5, s15, s4
	s_mul_hi_u32 s15, s14, s4
	s_addc_u32 s19, s22, s19
	s_add_i32 s5, s15, s5
	s_mul_i32 s4, s14, s4
	s_lshl_b64 s[4:5], s[4:5], 3
	s_add_u32 s8, s8, s4
	s_addc_u32 s9, s9, s5
	s_lshl_b64 s[4:5], s[10:11], 3
	s_add_u32 s4, s8, s4
	s_addc_u32 s5, s9, s5
	s_load_dword s2, s[0:1], 0x84
	v_bfe_u32 v23, v0, 10, 10
	s_cmp_gt_i32 s37, 0
	v_mul_lo_u32 v4, s12, v9
	v_mul_lo_u32 v5, s13, v8
	v_mad_u64_u32 v[2:3], s[8:9], s12, v8, 0
	v_lshlrev_b64 v[0:1], 3, v[8:9]
	v_add3_u32 v3, v3, v4, v5
	v_lshlrev_b32_e32 v4, 3, v23
	s_cselect_b64 s[0:1], -1, 0
	v_lshl_add_u64 v[10:11], s[4:5], 0, v[0:1]
	v_lshlrev_b64 v[2:3], 3, v[2:3]
	v_lshlrev_b32_e32 v9, 8, v22
	v_or_b32_e32 v25, 0x2000, v4
	v_lshl_add_u64 v[14:15], s[18:19], 0, v[0:1]
	v_cndmask_b32_e64 v0, 0, 1, s[0:1]
	s_mov_b32 s34, s39
	v_lshl_add_u64 v[12:13], s[4:5], 0, v[2:3]
	v_add_u32_e32 v24, v9, v4
	v_add_u32_e32 v26, v25, v9
	v_cmp_gt_i32_e64 s[8:9], s37, v8
	v_lshl_add_u64 v[16:17], v[10:11], 0, v[2:3]
	s_mov_b32 s14, s35
	s_mov_b32 s15, s39
	v_cmp_ne_u32_e64 s[4:5], 1, v0
	v_add_u32_e32 v27, 0x800, v25
	v_add_u32_e32 v28, 0x1000, v25
	;; [unrolled: 1-line block ×3, first 2 shown]
	s_branch .LBB26_4
.LBB26_3:                               ;   in Loop: Header=BB26_4 Depth=1
	s_waitcnt lgkmcnt(0)
	s_add_i32 s3, s3, s2
	s_cmp_gt_i32 s3, s33
	s_cbranch_scc1 .LBB26_21
.LBB26_4:                               ; =>This Loop Header: Depth=1
                                        ;     Child Loop BB26_7 Depth 2
	s_and_b64 vcc, exec, s[4:5]
	s_cbranch_vccnz .LBB26_3
; %bb.5:                                ;   in Loop: Header=BB26_4 Depth=1
	v_lshl_add_u32 v2, s3, 5, v23
	v_ashrrev_i32_e32 v3, 31, v2
	v_mul_lo_u32 v4, s20, v3
	v_mul_lo_u32 v5, s21, v2
	v_mad_u64_u32 v[0:1], s[0:1], s20, v2, 0
	v_add3_u32 v1, v1, v4, v5
	v_lshl_add_u64 v[18:19], v[0:1], 3, s[16:17]
	v_mul_lo_u32 v3, s28, v3
	v_mul_lo_u32 v4, s29, v2
	v_mad_u64_u32 v[0:1], s[0:1], s28, v2, 0
	v_cmp_gt_i32_e32 vcc, s38, v2
	v_add3_u32 v1, v1, v3, v4
	s_and_b64 s[18:19], s[8:9], vcc
	v_lshl_add_u64 v[20:21], v[0:1], 3, v[14:15]
	s_mov_b32 s24, 0
	s_branch .LBB26_7
.LBB26_6:                               ;   in Loop: Header=BB26_7 Depth=2
	s_or_b64 exec, exec, s[0:1]
	s_add_i32 s24, s24, 32
	s_cmp_ge_i32 s24, s37
	s_barrier
	s_cbranch_scc1 .LBB26_3
.LBB26_7:                               ;   Parent Loop BB26_4 Depth=1
                                        ; =>  This Inner Loop Header: Depth=2
	v_add_u32_e32 v4, s24, v23
	v_cndmask_b32_e64 v0, v4, v8, s[6:7]
	v_cndmask_b32_e64 v1, v8, v4, s[6:7]
	v_cmp_gt_i32_e64 s[10:11], v0, v1
	v_cmp_le_i32_e64 s[0:1], v0, v1
	v_mov_b32_e32 v2, 0
	v_cndmask_b32_e64 v0, v8, v4, s[10:11]
	v_cndmask_b32_e64 v1, v4, v8, s[10:11]
	v_max_i32_e32 v0, v0, v1
	v_cmp_gt_i32_e64 s[10:11], s37, v0
	v_mov_b32_e32 v0, 0
	v_mov_b32_e32 v3, 0
	s_and_saveexec_b64 s[22:23], s[10:11]
	s_cbranch_execz .LBB26_17
; %bb.8:                                ;   in Loop: Header=BB26_7 Depth=2
                                        ; implicit-def: $vgpr3
	s_and_saveexec_b64 s[10:11], s[0:1]
	s_xor_b64 s[10:11], exec, s[10:11]
	s_cbranch_execz .LBB26_14
; %bb.9:                                ;   in Loop: Header=BB26_7 Depth=2
	v_cmp_ne_u32_e64 s[0:1], v4, v8
                                        ; implicit-def: $vgpr3
	s_and_saveexec_b64 s[26:27], s[0:1]
	s_xor_b64 s[0:1], exec, s[26:27]
	s_cbranch_execz .LBB26_11
; %bb.10:                               ;   in Loop: Header=BB26_7 Depth=2
	v_ashrrev_i32_e32 v1, 31, v4
	v_mul_lo_u32 v5, s13, v4
	v_mul_lo_u32 v1, s12, v1
	v_mad_u64_u32 v[2:3], s[26:27], s12, v4, 0
	v_add3_u32 v3, v3, v1, v5
	v_lshl_add_u64 v[2:3], v[2:3], 3, v[10:11]
	global_load_dwordx2 v[2:3], v[2:3], off
.LBB26_11:                              ;   in Loop: Header=BB26_7 Depth=2
	s_andn2_saveexec_b64 s[0:1], s[0:1]
	s_cbranch_execz .LBB26_13
; %bb.12:                               ;   in Loop: Header=BB26_7 Depth=2
	global_load_dword v2, v[16:17], off
	s_waitcnt vmcnt(1)
	v_mov_b32_e32 v3, 0
.LBB26_13:                              ;   in Loop: Header=BB26_7 Depth=2
	s_or_b64 exec, exec, s[0:1]
                                        ; implicit-def: $vgpr4
.LBB26_14:                              ;   in Loop: Header=BB26_7 Depth=2
	s_andn2_saveexec_b64 s[0:1], s[10:11]
	s_cbranch_execz .LBB26_16
; %bb.15:                               ;   in Loop: Header=BB26_7 Depth=2
	v_ashrrev_i32_e32 v5, 31, v4
	s_waitcnt vmcnt(0)
	v_lshl_add_u64 v[2:3], v[4:5], 3, v[12:13]
	global_load_dwordx2 v[2:3], v[2:3], off
	s_waitcnt vmcnt(0)
	v_xor_b32_e32 v3, 0x80000000, v3
.LBB26_16:                              ;   in Loop: Header=BB26_7 Depth=2
	s_or_b64 exec, exec, s[0:1]
.LBB26_17:                              ;   in Loop: Header=BB26_7 Depth=2
	s_or_b64 exec, exec, s[22:23]
	s_waitcnt vmcnt(0)
	ds_write_b64 v24, v[2:3]
	v_add_u32_e32 v2, s24, v22
	v_cmp_gt_i32_e64 s[0:1], s37, v2
	s_and_b64 s[10:11], s[0:1], vcc
	v_mov_b32_e32 v1, 0
	s_and_saveexec_b64 s[0:1], s[10:11]
	s_cbranch_execz .LBB26_19
; %bb.18:                               ;   in Loop: Header=BB26_7 Depth=2
	v_ashrrev_i32_e32 v3, 31, v2
	v_lshl_add_u64 v[0:1], v[2:3], 3, v[18:19]
	global_load_dwordx2 v[0:1], v[0:1], off
.LBB26_19:                              ;   in Loop: Header=BB26_7 Depth=2
	s_or_b64 exec, exec, s[0:1]
	s_waitcnt vmcnt(0)
	ds_write_b64 v26, v[0:1]
	s_waitcnt lgkmcnt(0)
	s_barrier
	s_and_saveexec_b64 s[0:1], s[18:19]
	s_cbranch_execz .LBB26_6
; %bb.20:                               ;   in Loop: Header=BB26_7 Depth=2
	ds_read2_b64 v[0:3], v25 offset1:32
	ds_read_b128 v[4:7], v9
	ds_read_b128 v[30:33], v9 offset:16
	ds_read_b128 v[34:37], v9 offset:32
	;; [unrolled: 1-line block ×3, first 2 shown]
	s_waitcnt lgkmcnt(3)
	v_mul_f32_e32 v42, v1, v5
	v_fma_f32 v42, v0, v4, -v42
	v_mul_f32_e32 v0, v0, v5
	v_fmac_f32_e32 v0, v1, v4
	v_add_f32_e32 v1, 0, v42
	ds_read2_b64 v[42:45], v25 offset0:64 offset1:96
	v_mul_f32_e32 v4, v3, v7
	v_fma_f32 v4, v2, v6, -v4
	v_mul_f32_e32 v2, v2, v7
	v_add_f32_e32 v0, 0, v0
	v_fmac_f32_e32 v2, v3, v6
	s_waitcnt lgkmcnt(0)
	v_mul_f32_e32 v3, v42, v31
	v_add_f32_e32 v0, v0, v2
	v_mul_f32_e32 v2, v43, v31
	v_fmac_f32_e32 v3, v43, v30
	v_add_f32_e32 v1, v1, v4
	v_fma_f32 v2, v42, v30, -v2
	v_add_f32_e32 v5, v0, v3
	v_mul_f32_e32 v0, v45, v33
	v_add_f32_e32 v4, v1, v2
	v_fma_f32 v6, v44, v32, -v0
	ds_read2_b64 v[0:3], v25 offset0:128 offset1:160
	v_mul_f32_e32 v7, v44, v33
	v_add_f32_e32 v4, v4, v6
	v_fmac_f32_e32 v7, v45, v32
	v_add_f32_e32 v5, v5, v7
	s_waitcnt lgkmcnt(0)
	v_mul_f32_e32 v6, v1, v35
	v_fma_f32 v6, v0, v34, -v6
	v_mul_f32_e32 v0, v0, v35
	v_fmac_f32_e32 v0, v1, v34
	v_add_f32_e32 v1, v4, v6
	v_mul_f32_e32 v4, v3, v37
	v_add_f32_e32 v0, v5, v0
	v_fma_f32 v30, v2, v36, -v4
	ds_read2_b64 v[4:7], v25 offset0:192 offset1:224
	v_mul_f32_e32 v2, v2, v37
	v_fmac_f32_e32 v2, v3, v36
	v_add_f32_e32 v0, v0, v2
	v_add_f32_e32 v1, v1, v30
	s_waitcnt lgkmcnt(0)
	v_mul_f32_e32 v3, v4, v39
	v_mul_f32_e32 v2, v5, v39
	v_fmac_f32_e32 v3, v5, v38
	v_fma_f32 v2, v4, v38, -v2
	v_add_f32_e32 v5, v0, v3
	v_mul_f32_e32 v0, v7, v41
	v_add_f32_e32 v4, v1, v2
	v_fma_f32 v34, v6, v40, -v0
	ds_read_b128 v[0:3], v9 offset:64
	ds_read2_b64 v[30:33], v27 offset1:32
	v_mul_f32_e32 v6, v6, v41
	v_fmac_f32_e32 v6, v7, v40
	v_add_f32_e32 v34, v4, v34
	v_add_f32_e32 v35, v5, v6
	s_waitcnt lgkmcnt(0)
	v_mul_f32_e32 v36, v31, v1
	v_mul_f32_e32 v1, v30, v1
	v_fma_f32 v36, v30, v0, -v36
	v_fmac_f32_e32 v1, v31, v0
	ds_read_b128 v[4:7], v9 offset:80
	v_add_f32_e32 v0, v34, v36
	v_add_f32_e32 v1, v35, v1
	ds_read2_b64 v[34:37], v27 offset0:64 offset1:96
	v_mul_f32_e32 v30, v33, v3
	v_mul_f32_e32 v3, v32, v3
	v_fma_f32 v30, v32, v2, -v30
	v_fmac_f32_e32 v3, v33, v2
	s_waitcnt lgkmcnt(0)
	v_mul_f32_e32 v2, v35, v5
	v_add_f32_e32 v0, v0, v30
	v_add_f32_e32 v1, v1, v3
	v_fma_f32 v2, v34, v4, -v2
	v_mul_f32_e32 v3, v34, v5
	v_fmac_f32_e32 v3, v35, v4
	v_add_f32_e32 v4, v0, v2
	v_mul_f32_e32 v0, v37, v7
	v_add_f32_e32 v5, v1, v3
	v_fma_f32 v34, v36, v6, -v0
	ds_read_b128 v[0:3], v9 offset:96
	ds_read2_b64 v[30:33], v27 offset0:128 offset1:160
	v_mul_f32_e32 v7, v36, v7
	v_fmac_f32_e32 v7, v37, v6
	v_add_f32_e32 v34, v4, v34
	v_add_f32_e32 v35, v5, v7
	s_waitcnt lgkmcnt(0)
	v_mul_f32_e32 v36, v31, v1
	v_mul_f32_e32 v1, v30, v1
	v_fma_f32 v36, v30, v0, -v36
	v_fmac_f32_e32 v1, v31, v0
	ds_read_b128 v[4:7], v9 offset:112
	v_add_f32_e32 v0, v34, v36
	v_add_f32_e32 v1, v35, v1
	ds_read2_b64 v[34:37], v27 offset0:192 offset1:224
	v_mul_f32_e32 v30, v33, v3
	v_mul_f32_e32 v3, v32, v3
	v_fma_f32 v30, v32, v2, -v30
	v_fmac_f32_e32 v3, v33, v2
	s_waitcnt lgkmcnt(0)
	v_mul_f32_e32 v2, v35, v5
	v_add_f32_e32 v0, v0, v30
	v_add_f32_e32 v1, v1, v3
	v_fma_f32 v2, v34, v4, -v2
	v_mul_f32_e32 v3, v34, v5
	v_fmac_f32_e32 v3, v35, v4
	v_add_f32_e32 v4, v0, v2
	v_mul_f32_e32 v0, v37, v7
	v_add_f32_e32 v5, v1, v3
	v_fma_f32 v34, v36, v6, -v0
	ds_read_b128 v[0:3], v9 offset:128
	ds_read2_b64 v[30:33], v28 offset1:32
	v_mul_f32_e32 v7, v36, v7
	v_fmac_f32_e32 v7, v37, v6
	v_add_f32_e32 v4, v4, v34
	ds_read_b128 v[34:37], v9 offset:144
	ds_read2_b64 v[38:41], v28 offset0:64 offset1:96
	s_waitcnt lgkmcnt(2)
	v_mul_f32_e32 v6, v31, v1
	v_fma_f32 v6, v30, v0, -v6
	v_mul_f32_e32 v1, v30, v1
	v_add_f32_e32 v5, v5, v7
	v_fmac_f32_e32 v1, v31, v0
	v_add_f32_e32 v0, v4, v6
	v_mul_f32_e32 v4, v33, v3
	v_mul_f32_e32 v3, v32, v3
	v_add_f32_e32 v1, v5, v1
	v_fma_f32 v4, v32, v2, -v4
	v_fmac_f32_e32 v3, v33, v2
	s_waitcnt lgkmcnt(0)
	v_mul_f32_e32 v2, v39, v35
	v_add_f32_e32 v0, v0, v4
	v_add_f32_e32 v1, v1, v3
	v_fma_f32 v2, v38, v34, -v2
	v_mul_f32_e32 v3, v38, v35
	v_fmac_f32_e32 v3, v39, v34
	v_add_f32_e32 v30, v0, v2
	v_mul_f32_e32 v0, v41, v37
	v_add_f32_e32 v31, v1, v3
	v_fma_f32 v32, v40, v36, -v0
	ds_read_b128 v[0:3], v9 offset:160
	ds_read2_b64 v[4:7], v28 offset0:128 offset1:160
	global_load_dwordx2 v[38:39], v[20:21], off
	v_mul_f32_e32 v33, v40, v37
	v_fmac_f32_e32 v33, v41, v36
	v_add_f32_e32 v34, v30, v32
	s_waitcnt lgkmcnt(0)
	v_mul_f32_e32 v36, v5, v1
	v_mul_f32_e32 v1, v4, v1
	v_add_f32_e32 v35, v31, v33
	v_fma_f32 v36, v4, v0, -v36
	v_fmac_f32_e32 v1, v5, v0
	ds_read_b128 v[30:33], v9 offset:176
	v_add_f32_e32 v0, v34, v36
	v_add_f32_e32 v1, v35, v1
	ds_read2_b64 v[34:37], v28 offset0:192 offset1:224
	v_mul_f32_e32 v4, v7, v3
	v_mul_f32_e32 v3, v6, v3
	v_fma_f32 v4, v6, v2, -v4
	v_fmac_f32_e32 v3, v7, v2
	s_waitcnt lgkmcnt(0)
	v_mul_f32_e32 v2, v35, v31
	v_add_f32_e32 v0, v0, v4
	v_add_f32_e32 v1, v1, v3
	v_fma_f32 v2, v34, v30, -v2
	v_mul_f32_e32 v3, v34, v31
	v_fmac_f32_e32 v3, v35, v30
	v_add_f32_e32 v30, v0, v2
	v_mul_f32_e32 v0, v37, v33
	v_add_f32_e32 v31, v1, v3
	v_fma_f32 v34, v36, v32, -v0
	ds_read_b128 v[0:3], v9 offset:192
	ds_read2_b64 v[4:7], v29 offset1:32
	v_mul_f32_e32 v33, v36, v33
	v_fmac_f32_e32 v33, v37, v32
	v_add_f32_e32 v34, v30, v34
	v_add_f32_e32 v35, v31, v33
	s_waitcnt lgkmcnt(0)
	v_mul_f32_e32 v36, v5, v1
	v_mul_f32_e32 v1, v4, v1
	v_fma_f32 v36, v4, v0, -v36
	v_fmac_f32_e32 v1, v5, v0
	ds_read_b128 v[30:33], v9 offset:208
	v_add_f32_e32 v0, v34, v36
	v_add_f32_e32 v1, v35, v1
	ds_read2_b64 v[34:37], v29 offset0:64 offset1:96
	v_mul_f32_e32 v4, v7, v3
	v_mul_f32_e32 v3, v6, v3
	v_fma_f32 v4, v6, v2, -v4
	v_fmac_f32_e32 v3, v7, v2
	s_waitcnt lgkmcnt(0)
	v_mul_f32_e32 v2, v35, v31
	v_add_f32_e32 v0, v0, v4
	v_add_f32_e32 v1, v1, v3
	v_fma_f32 v2, v34, v30, -v2
	v_mul_f32_e32 v3, v34, v31
	v_fmac_f32_e32 v3, v35, v30
	v_add_f32_e32 v30, v0, v2
	v_mul_f32_e32 v0, v37, v33
	v_add_f32_e32 v31, v1, v3
	v_fma_f32 v34, v36, v32, -v0
	ds_read_b128 v[0:3], v9 offset:224
	ds_read2_b64 v[4:7], v29 offset0:128 offset1:160
	v_mul_f32_e32 v33, v36, v33
	v_fmac_f32_e32 v33, v37, v32
	v_add_f32_e32 v34, v30, v34
	v_add_f32_e32 v35, v31, v33
	s_waitcnt lgkmcnt(0)
	v_mul_f32_e32 v36, v5, v1
	v_mul_f32_e32 v1, v4, v1
	v_fma_f32 v36, v4, v0, -v36
	v_fmac_f32_e32 v1, v5, v0
	ds_read_b128 v[30:33], v9 offset:240
	v_add_f32_e32 v0, v34, v36
	v_add_f32_e32 v1, v35, v1
	ds_read2_b64 v[34:37], v29 offset0:192 offset1:224
	v_mul_f32_e32 v4, v7, v3
	v_mul_f32_e32 v3, v6, v3
	v_fmac_f32_e32 v3, v7, v2
	v_fma_f32 v4, v6, v2, -v4
	v_add_f32_e32 v1, v1, v3
	s_waitcnt lgkmcnt(0)
	v_mul_f32_e32 v2, v35, v31
	v_mul_f32_e32 v3, v34, v31
	v_add_f32_e32 v0, v0, v4
	v_fma_f32 v2, v34, v30, -v2
	v_fmac_f32_e32 v3, v35, v30
	v_add_f32_e32 v0, v0, v2
	v_add_f32_e32 v1, v1, v3
	v_mul_f32_e32 v2, v37, v33
	v_mul_f32_e32 v3, v36, v33
	v_fma_f32 v2, v36, v32, -v2
	v_fmac_f32_e32 v3, v37, v32
	v_add_f32_e32 v0, v0, v2
	v_add_f32_e32 v2, v1, v3
	v_pk_mul_f32 v[2:3], s[14:15], v[2:3] op_sel_hi:[1,0]
	s_nop 0
	v_pk_fma_f32 v[4:5], s[34:35], v[0:1], v[2:3] neg_lo:[0,0,1] neg_hi:[0,0,1]
	v_pk_fma_f32 v[0:1], s[34:35], v[0:1], v[2:3] op_sel_hi:[1,0,1]
	s_nop 0
	v_mov_b32_e32 v5, v1
	s_waitcnt vmcnt(0)
	v_pk_add_f32 v[0:1], v[38:39], v[4:5]
	global_store_dwordx2 v[20:21], v[0:1], off
	s_branch .LBB26_6
.LBB26_21:
	s_endpgm
	.section	.rodata,"a",@progbits
	.p2align	6, 0x0
	.amdhsa_kernel _ZL24rocblas_symm_hemm_kernelILb1ELb0ELi32E19rocblas_complex_numIfEPKS1_PS1_EvbiiT2_T3_lllS6_lllT4_llli
		.amdhsa_group_segment_fixed_size 16384
		.amdhsa_private_segment_fixed_size 0
		.amdhsa_kernarg_size 384
		.amdhsa_user_sgpr_count 2
		.amdhsa_user_sgpr_dispatch_ptr 0
		.amdhsa_user_sgpr_queue_ptr 0
		.amdhsa_user_sgpr_kernarg_segment_ptr 1
		.amdhsa_user_sgpr_dispatch_id 0
		.amdhsa_user_sgpr_kernarg_preload_length 0
		.amdhsa_user_sgpr_kernarg_preload_offset 0
		.amdhsa_user_sgpr_private_segment_size 0
		.amdhsa_uses_dynamic_stack 0
		.amdhsa_enable_private_segment 0
		.amdhsa_system_sgpr_workgroup_id_x 1
		.amdhsa_system_sgpr_workgroup_id_y 1
		.amdhsa_system_sgpr_workgroup_id_z 1
		.amdhsa_system_sgpr_workgroup_info 0
		.amdhsa_system_vgpr_workitem_id 1
		.amdhsa_next_free_vgpr 46
		.amdhsa_next_free_sgpr 40
		.amdhsa_accum_offset 48
		.amdhsa_reserve_vcc 1
		.amdhsa_float_round_mode_32 0
		.amdhsa_float_round_mode_16_64 0
		.amdhsa_float_denorm_mode_32 3
		.amdhsa_float_denorm_mode_16_64 3
		.amdhsa_dx10_clamp 1
		.amdhsa_ieee_mode 1
		.amdhsa_fp16_overflow 0
		.amdhsa_tg_split 0
		.amdhsa_exception_fp_ieee_invalid_op 0
		.amdhsa_exception_fp_denorm_src 0
		.amdhsa_exception_fp_ieee_div_zero 0
		.amdhsa_exception_fp_ieee_overflow 0
		.amdhsa_exception_fp_ieee_underflow 0
		.amdhsa_exception_fp_ieee_inexact 0
		.amdhsa_exception_int_div_zero 0
	.end_amdhsa_kernel
	.section	.text._ZL24rocblas_symm_hemm_kernelILb1ELb0ELi32E19rocblas_complex_numIfEPKS1_PS1_EvbiiT2_T3_lllS6_lllT4_llli,"axG",@progbits,_ZL24rocblas_symm_hemm_kernelILb1ELb0ELi32E19rocblas_complex_numIfEPKS1_PS1_EvbiiT2_T3_lllS6_lllT4_llli,comdat
.Lfunc_end26:
	.size	_ZL24rocblas_symm_hemm_kernelILb1ELb0ELi32E19rocblas_complex_numIfEPKS1_PS1_EvbiiT2_T3_lllS6_lllT4_llli, .Lfunc_end26-_ZL24rocblas_symm_hemm_kernelILb1ELb0ELi32E19rocblas_complex_numIfEPKS1_PS1_EvbiiT2_T3_lllS6_lllT4_llli
                                        ; -- End function
	.set _ZL24rocblas_symm_hemm_kernelILb1ELb0ELi32E19rocblas_complex_numIfEPKS1_PS1_EvbiiT2_T3_lllS6_lllT4_llli.num_vgpr, 46
	.set _ZL24rocblas_symm_hemm_kernelILb1ELb0ELi32E19rocblas_complex_numIfEPKS1_PS1_EvbiiT2_T3_lllS6_lllT4_llli.num_agpr, 0
	.set _ZL24rocblas_symm_hemm_kernelILb1ELb0ELi32E19rocblas_complex_numIfEPKS1_PS1_EvbiiT2_T3_lllS6_lllT4_llli.numbered_sgpr, 40
	.set _ZL24rocblas_symm_hemm_kernelILb1ELb0ELi32E19rocblas_complex_numIfEPKS1_PS1_EvbiiT2_T3_lllS6_lllT4_llli.num_named_barrier, 0
	.set _ZL24rocblas_symm_hemm_kernelILb1ELb0ELi32E19rocblas_complex_numIfEPKS1_PS1_EvbiiT2_T3_lllS6_lllT4_llli.private_seg_size, 0
	.set _ZL24rocblas_symm_hemm_kernelILb1ELb0ELi32E19rocblas_complex_numIfEPKS1_PS1_EvbiiT2_T3_lllS6_lllT4_llli.uses_vcc, 1
	.set _ZL24rocblas_symm_hemm_kernelILb1ELb0ELi32E19rocblas_complex_numIfEPKS1_PS1_EvbiiT2_T3_lllS6_lllT4_llli.uses_flat_scratch, 0
	.set _ZL24rocblas_symm_hemm_kernelILb1ELb0ELi32E19rocblas_complex_numIfEPKS1_PS1_EvbiiT2_T3_lllS6_lllT4_llli.has_dyn_sized_stack, 0
	.set _ZL24rocblas_symm_hemm_kernelILb1ELb0ELi32E19rocblas_complex_numIfEPKS1_PS1_EvbiiT2_T3_lllS6_lllT4_llli.has_recursion, 0
	.set _ZL24rocblas_symm_hemm_kernelILb1ELb0ELi32E19rocblas_complex_numIfEPKS1_PS1_EvbiiT2_T3_lllS6_lllT4_llli.has_indirect_call, 0
	.section	.AMDGPU.csdata,"",@progbits
; Kernel info:
; codeLenInByte = 2216
; TotalNumSgprs: 46
; NumVgprs: 46
; NumAgprs: 0
; TotalNumVgprs: 46
; ScratchSize: 0
; MemoryBound: 0
; FloatMode: 240
; IeeeMode: 1
; LDSByteSize: 16384 bytes/workgroup (compile time only)
; SGPRBlocks: 5
; VGPRBlocks: 5
; NumSGPRsForWavesPerEU: 46
; NumVGPRsForWavesPerEU: 46
; AccumOffset: 48
; Occupancy: 8
; WaveLimiterHint : 0
; COMPUTE_PGM_RSRC2:SCRATCH_EN: 0
; COMPUTE_PGM_RSRC2:USER_SGPR: 2
; COMPUTE_PGM_RSRC2:TRAP_HANDLER: 0
; COMPUTE_PGM_RSRC2:TGID_X_EN: 1
; COMPUTE_PGM_RSRC2:TGID_Y_EN: 1
; COMPUTE_PGM_RSRC2:TGID_Z_EN: 1
; COMPUTE_PGM_RSRC2:TIDIG_COMP_CNT: 1
; COMPUTE_PGM_RSRC3_GFX90A:ACCUM_OFFSET: 11
; COMPUTE_PGM_RSRC3_GFX90A:TG_SPLIT: 0
	.section	.text._ZL24rocblas_symm_hemm_kernelILb1ELb1ELi32E19rocblas_complex_numIfEPKS1_PS1_EvbiiT2_T3_lllS6_lllT4_llli,"axG",@progbits,_ZL24rocblas_symm_hemm_kernelILb1ELb1ELi32E19rocblas_complex_numIfEPKS1_PS1_EvbiiT2_T3_lllS6_lllT4_llli,comdat
	.globl	_ZL24rocblas_symm_hemm_kernelILb1ELb1ELi32E19rocblas_complex_numIfEPKS1_PS1_EvbiiT2_T3_lllS6_lllT4_llli ; -- Begin function _ZL24rocblas_symm_hemm_kernelILb1ELb1ELi32E19rocblas_complex_numIfEPKS1_PS1_EvbiiT2_T3_lllS6_lllT4_llli
	.p2align	8
	.type	_ZL24rocblas_symm_hemm_kernelILb1ELb1ELi32E19rocblas_complex_numIfEPKS1_PS1_EvbiiT2_T3_lllS6_lllT4_llli,@function
_ZL24rocblas_symm_hemm_kernelILb1ELb1ELi32E19rocblas_complex_numIfEPKS1_PS1_EvbiiT2_T3_lllS6_lllT4_llli: ; @_ZL24rocblas_symm_hemm_kernelILb1ELb1ELi32E19rocblas_complex_numIfEPKS1_PS1_EvbiiT2_T3_lllS6_lllT4_llli
; %bb.0:
	s_load_dwordx4 s[36:39], s[0:1], 0x0
	s_load_dword s35, s[0:1], 0x10
	s_waitcnt lgkmcnt(0)
	v_cmp_eq_f32_e64 s[6:7], s39, 0
	v_cmp_eq_f32_e64 s[8:9], s35, 0
	s_and_b64 s[6:7], s[6:7], s[8:9]
	s_and_b64 vcc, exec, s[6:7]
	s_cbranch_vccnz .LBB27_21
; %bb.1:
	s_add_i32 s5, s38, -1
	s_ashr_i32 s6, s5, 31
	s_lshr_b32 s6, s6, 27
	s_add_i32 s5, s5, s6
	s_ashr_i32 s33, s5, 5
	s_cmp_gt_i32 s3, s33
	s_cbranch_scc1 .LBB27_21
; %bb.2:
	s_load_dwordx16 s[8:23], s[0:1], 0x18
	s_load_dwordx8 s[24:31], s[0:1], 0x58
	v_and_b32_e32 v22, 0x3ff, v0
	v_lshl_add_u32 v2, s2, 5, v22
	s_load_dword s2, s[0:1], 0x84
	s_waitcnt lgkmcnt(0)
	s_mul_i32 s5, s15, s4
	s_mul_hi_u32 s7, s14, s4
	s_mul_i32 s6, s14, s4
	s_add_i32 s7, s7, s5
	s_lshl_b64 s[6:7], s[6:7], 3
	s_add_u32 s5, s8, s6
	s_addc_u32 s8, s9, s7
	s_lshl_b64 s[6:7], s[10:11], 3
	s_add_u32 s10, s5, s6
	s_addc_u32 s11, s8, s7
	s_bitcmp1_b32 s36, 0
	s_mul_i32 s5, s31, s4
	s_mul_hi_u32 s8, s30, s4
	s_cselect_b64 s[6:7], -1, 0
	s_add_i32 s9, s8, s5
	s_mul_i32 s8, s30, s4
	s_lshl_b64 s[8:9], s[8:9], 3
	s_add_u32 s5, s24, s8
	s_addc_u32 s15, s25, s9
	s_lshl_b64 s[8:9], s[26:27], 3
	s_add_u32 s14, s5, s8
	s_mul_i32 s5, s23, s4
	s_mul_hi_u32 s8, s22, s4
	s_addc_u32 s15, s15, s9
	s_add_i32 s5, s8, s5
	s_mul_i32 s4, s22, s4
	s_lshl_b64 s[4:5], s[4:5], 3
	s_add_u32 s8, s16, s4
	s_addc_u32 s9, s17, s5
	s_lshl_b64 s[4:5], s[18:19], 3
	s_add_u32 s4, s8, s4
	s_addc_u32 s5, s9, s5
	v_ashrrev_i32_e32 v3, 31, v2
	v_bfe_u32 v23, v0, 10, 10
	s_cmp_gt_i32 s38, 0
	v_lshlrev_b64 v[0:1], 3, v[2:3]
	s_cselect_b64 s[16:17], -1, 0
	v_cmp_gt_i32_e64 s[8:9], s37, v2
	v_lshl_add_u64 v[8:9], s[4:5], 0, v[0:1]
	v_lshlrev_b32_e32 v2, 3, v23
	v_lshl_add_u64 v[10:11], s[14:15], 0, v[0:1]
	v_lshl_add_u32 v0, s3, 5, v23
	v_lshlrev_b32_e32 v24, 8, v22
	v_or_b32_e32 v26, 0x2000, v2
	v_sub_u32_e32 v28, 0, v0
	v_cndmask_b32_e64 v0, 0, 1, s[16:17]
	s_mov_b32 s34, s39
	v_add_u32_e32 v25, v24, v2
	v_add_u32_e32 v27, v26, v24
	s_mov_b32 s14, s35
	s_mov_b32 s15, s39
	s_lshl_b32 s24, s2, 5
	v_cmp_ne_u32_e64 s[4:5], 1, v0
	v_add_u32_e32 v29, 0x800, v26
	v_add_u32_e32 v30, 0x1000, v26
	;; [unrolled: 1-line block ×3, first 2 shown]
	s_branch .LBB27_4
.LBB27_3:                               ;   in Loop: Header=BB27_4 Depth=1
	s_add_i32 s3, s3, s2
	s_cmp_gt_i32 s3, s33
	v_subrev_u32_e32 v28, s24, v28
	s_cbranch_scc1 .LBB27_21
.LBB27_4:                               ; =>This Loop Header: Depth=1
                                        ;     Child Loop BB27_7 Depth 2
	s_and_b64 vcc, exec, s[4:5]
	s_cbranch_vccnz .LBB27_3
; %bb.5:                                ;   in Loop: Header=BB27_4 Depth=1
	v_lshl_add_u32 v12, s3, 5, v23
	v_ashrrev_i32_e32 v13, 31, v12
	v_mul_lo_u32 v2, s12, v13
	v_mul_lo_u32 v3, s13, v12
	v_mad_u64_u32 v[0:1], s[0:1], s12, v12, 0
	v_add3_u32 v1, v1, v2, v3
	v_mul_lo_u32 v4, s28, v13
	v_mul_lo_u32 v5, s29, v12
	v_mad_u64_u32 v[2:3], s[0:1], s28, v12, 0
	v_lshl_add_u64 v[14:15], v[0:1], 3, s[10:11]
	v_lshlrev_b64 v[0:1], 3, v[12:13]
	v_cmp_gt_i32_e32 vcc, s38, v12
	v_add3_u32 v3, v3, v4, v5
	v_lshl_add_u64 v[16:17], s[10:11], 0, v[0:1]
	s_and_b64 s[16:17], s[8:9], vcc
	v_lshl_add_u64 v[18:19], v[2:3], 3, v[10:11]
	v_lshl_add_u64 v[20:21], v[14:15], 0, v[0:1]
	v_add_u32_e32 v13, v22, v28
	s_mov_b32 s25, 0
	s_branch .LBB27_7
.LBB27_6:                               ;   in Loop: Header=BB27_7 Depth=2
	s_or_b64 exec, exec, s[0:1]
	s_add_i32 s25, s25, 32
	s_cmp_ge_i32 s25, s38
	s_barrier
	s_cbranch_scc1 .LBB27_3
.LBB27_7:                               ;   Parent Loop BB27_4 Depth=1
                                        ; =>  This Inner Loop Header: Depth=2
	v_add_u32_e32 v1, s25, v23
	v_cmp_gt_i32_e32 vcc, s38, v1
	s_and_b64 s[18:19], s[8:9], vcc
	v_mov_b32_e32 v0, 0
	v_mov_b32_e32 v2, 0
	;; [unrolled: 1-line block ×3, first 2 shown]
	s_and_saveexec_b64 s[0:1], s[18:19]
	s_cbranch_execz .LBB27_9
; %bb.8:                                ;   in Loop: Header=BB27_7 Depth=2
	v_ashrrev_i32_e32 v2, 31, v1
	v_mul_lo_u32 v4, s21, v1
	v_mul_lo_u32 v5, s20, v2
	v_mad_u64_u32 v[2:3], s[18:19], s20, v1, 0
	v_add3_u32 v3, v3, v5, v4
	v_lshl_add_u64 v[2:3], v[2:3], 3, v[8:9]
	global_load_dwordx2 v[2:3], v[2:3], off
.LBB27_9:                               ;   in Loop: Header=BB27_7 Depth=2
	s_or_b64 exec, exec, s[0:1]
	s_waitcnt vmcnt(0)
	ds_write_b64 v25, v[2:3]
	v_add_u32_e32 v2, s25, v22
	v_cndmask_b32_e64 v1, v12, v2, s[6:7]
	v_cndmask_b32_e64 v3, v2, v12, s[6:7]
	v_cmp_gt_i32_e64 s[0:1], v1, v3
	v_cmp_le_i32_e32 vcc, v1, v3
	s_nop 0
	v_cndmask_b32_e64 v1, v2, v12, s[0:1]
	v_cndmask_b32_e64 v3, v12, v2, s[0:1]
	v_max_i32_e32 v1, v1, v3
	v_cmp_gt_i32_e64 s[0:1], s38, v1
	v_mov_b32_e32 v1, 0
	s_and_saveexec_b64 s[18:19], s[0:1]
	s_cbranch_execz .LBB27_19
; %bb.10:                               ;   in Loop: Header=BB27_7 Depth=2
                                        ; implicit-def: $vgpr1
	s_and_saveexec_b64 s[0:1], vcc
	s_xor_b64 s[0:1], exec, s[0:1]
	s_cbranch_execz .LBB27_16
; %bb.11:                               ;   in Loop: Header=BB27_7 Depth=2
	v_add_u32_e32 v0, s25, v13
	v_cmp_ne_u32_e32 vcc, 0, v0
                                        ; implicit-def: $vgpr1
	s_and_saveexec_b64 s[22:23], vcc
	s_xor_b64 s[22:23], exec, s[22:23]
	s_cbranch_execz .LBB27_13
; %bb.12:                               ;   in Loop: Header=BB27_7 Depth=2
	v_ashrrev_i32_e32 v3, 31, v2
	v_lshl_add_u64 v[0:1], v[2:3], 3, v[14:15]
	global_load_dwordx2 v[0:1], v[0:1], off
.LBB27_13:                              ;   in Loop: Header=BB27_7 Depth=2
	s_andn2_saveexec_b64 s[22:23], s[22:23]
	s_cbranch_execz .LBB27_15
; %bb.14:                               ;   in Loop: Header=BB27_7 Depth=2
	global_load_dword v0, v[20:21], off
	s_waitcnt vmcnt(1)
	v_mov_b32_e32 v1, 0
.LBB27_15:                              ;   in Loop: Header=BB27_7 Depth=2
	s_or_b64 exec, exec, s[22:23]
                                        ; implicit-def: $vgpr2
.LBB27_16:                              ;   in Loop: Header=BB27_7 Depth=2
	s_andn2_saveexec_b64 s[0:1], s[0:1]
	s_cbranch_execz .LBB27_18
; %bb.17:                               ;   in Loop: Header=BB27_7 Depth=2
	s_waitcnt vmcnt(0)
	v_ashrrev_i32_e32 v0, 31, v2
	v_mul_lo_u32 v3, s13, v2
	v_mul_lo_u32 v4, s12, v0
	v_mad_u64_u32 v[0:1], s[22:23], s12, v2, 0
	v_add3_u32 v1, v1, v4, v3
	v_lshl_add_u64 v[0:1], v[0:1], 3, v[16:17]
	global_load_dwordx2 v[0:1], v[0:1], off
	s_waitcnt vmcnt(0)
	v_xor_b32_e32 v1, 0x80000000, v1
.LBB27_18:                              ;   in Loop: Header=BB27_7 Depth=2
	s_or_b64 exec, exec, s[0:1]
.LBB27_19:                              ;   in Loop: Header=BB27_7 Depth=2
	s_or_b64 exec, exec, s[18:19]
	s_waitcnt vmcnt(0)
	ds_write_b64 v27, v[0:1]
	s_waitcnt lgkmcnt(0)
	s_barrier
	s_and_saveexec_b64 s[0:1], s[16:17]
	s_cbranch_execz .LBB27_6
; %bb.20:                               ;   in Loop: Header=BB27_7 Depth=2
	ds_read2_b64 v[0:3], v26 offset1:32
	ds_read_b128 v[4:7], v24
	ds_read_b128 v[32:35], v24 offset:16
	ds_read_b128 v[36:39], v24 offset:32
	;; [unrolled: 1-line block ×3, first 2 shown]
	s_waitcnt lgkmcnt(3)
	v_mul_f32_e32 v44, v1, v5
	v_fma_f32 v44, v0, v4, -v44
	v_mul_f32_e32 v0, v0, v5
	v_fmac_f32_e32 v0, v1, v4
	v_add_f32_e32 v1, 0, v44
	ds_read2_b64 v[44:47], v26 offset0:64 offset1:96
	v_mul_f32_e32 v4, v3, v7
	v_fma_f32 v4, v2, v6, -v4
	v_mul_f32_e32 v2, v2, v7
	v_add_f32_e32 v0, 0, v0
	v_fmac_f32_e32 v2, v3, v6
	s_waitcnt lgkmcnt(0)
	v_mul_f32_e32 v3, v44, v33
	v_add_f32_e32 v0, v0, v2
	v_mul_f32_e32 v2, v45, v33
	v_fmac_f32_e32 v3, v45, v32
	v_add_f32_e32 v1, v1, v4
	v_fma_f32 v2, v44, v32, -v2
	v_add_f32_e32 v5, v0, v3
	v_mul_f32_e32 v0, v47, v35
	v_add_f32_e32 v4, v1, v2
	v_fma_f32 v6, v46, v34, -v0
	ds_read2_b64 v[0:3], v26 offset0:128 offset1:160
	v_mul_f32_e32 v7, v46, v35
	v_add_f32_e32 v4, v4, v6
	v_fmac_f32_e32 v7, v47, v34
	v_add_f32_e32 v5, v5, v7
	s_waitcnt lgkmcnt(0)
	v_mul_f32_e32 v6, v1, v37
	v_fma_f32 v6, v0, v36, -v6
	v_mul_f32_e32 v0, v0, v37
	v_fmac_f32_e32 v0, v1, v36
	v_add_f32_e32 v1, v4, v6
	v_mul_f32_e32 v4, v3, v39
	v_add_f32_e32 v0, v5, v0
	v_fma_f32 v32, v2, v38, -v4
	ds_read2_b64 v[4:7], v26 offset0:192 offset1:224
	v_mul_f32_e32 v2, v2, v39
	v_fmac_f32_e32 v2, v3, v38
	v_add_f32_e32 v0, v0, v2
	v_add_f32_e32 v1, v1, v32
	s_waitcnt lgkmcnt(0)
	v_mul_f32_e32 v3, v4, v41
	v_mul_f32_e32 v2, v5, v41
	v_fmac_f32_e32 v3, v5, v40
	v_fma_f32 v2, v4, v40, -v2
	v_add_f32_e32 v5, v0, v3
	v_mul_f32_e32 v0, v7, v43
	v_add_f32_e32 v4, v1, v2
	v_fma_f32 v36, v6, v42, -v0
	ds_read_b128 v[0:3], v24 offset:64
	ds_read2_b64 v[32:35], v29 offset1:32
	v_mul_f32_e32 v6, v6, v43
	v_fmac_f32_e32 v6, v7, v42
	v_add_f32_e32 v36, v4, v36
	v_add_f32_e32 v37, v5, v6
	s_waitcnt lgkmcnt(0)
	v_mul_f32_e32 v38, v33, v1
	v_mul_f32_e32 v1, v32, v1
	v_fma_f32 v38, v32, v0, -v38
	v_fmac_f32_e32 v1, v33, v0
	ds_read_b128 v[4:7], v24 offset:80
	v_add_f32_e32 v0, v36, v38
	v_add_f32_e32 v1, v37, v1
	ds_read2_b64 v[36:39], v29 offset0:64 offset1:96
	v_mul_f32_e32 v32, v35, v3
	v_mul_f32_e32 v3, v34, v3
	v_fma_f32 v32, v34, v2, -v32
	v_fmac_f32_e32 v3, v35, v2
	s_waitcnt lgkmcnt(0)
	v_mul_f32_e32 v2, v37, v5
	v_add_f32_e32 v0, v0, v32
	v_add_f32_e32 v1, v1, v3
	v_fma_f32 v2, v36, v4, -v2
	v_mul_f32_e32 v3, v36, v5
	v_fmac_f32_e32 v3, v37, v4
	v_add_f32_e32 v4, v0, v2
	v_mul_f32_e32 v0, v39, v7
	v_add_f32_e32 v5, v1, v3
	v_fma_f32 v36, v38, v6, -v0
	ds_read_b128 v[0:3], v24 offset:96
	ds_read2_b64 v[32:35], v29 offset0:128 offset1:160
	v_mul_f32_e32 v7, v38, v7
	v_fmac_f32_e32 v7, v39, v6
	v_add_f32_e32 v36, v4, v36
	v_add_f32_e32 v37, v5, v7
	s_waitcnt lgkmcnt(0)
	v_mul_f32_e32 v38, v33, v1
	v_mul_f32_e32 v1, v32, v1
	v_fma_f32 v38, v32, v0, -v38
	v_fmac_f32_e32 v1, v33, v0
	ds_read_b128 v[4:7], v24 offset:112
	v_add_f32_e32 v0, v36, v38
	v_add_f32_e32 v1, v37, v1
	ds_read2_b64 v[36:39], v29 offset0:192 offset1:224
	v_mul_f32_e32 v32, v35, v3
	v_mul_f32_e32 v3, v34, v3
	v_fma_f32 v32, v34, v2, -v32
	v_fmac_f32_e32 v3, v35, v2
	s_waitcnt lgkmcnt(0)
	v_mul_f32_e32 v2, v37, v5
	v_add_f32_e32 v0, v0, v32
	v_add_f32_e32 v1, v1, v3
	v_fma_f32 v2, v36, v4, -v2
	v_mul_f32_e32 v3, v36, v5
	v_fmac_f32_e32 v3, v37, v4
	v_add_f32_e32 v4, v0, v2
	v_mul_f32_e32 v0, v39, v7
	v_add_f32_e32 v5, v1, v3
	v_fma_f32 v36, v38, v6, -v0
	ds_read_b128 v[0:3], v24 offset:128
	ds_read2_b64 v[32:35], v30 offset1:32
	v_mul_f32_e32 v7, v38, v7
	v_fmac_f32_e32 v7, v39, v6
	v_add_f32_e32 v4, v4, v36
	ds_read_b128 v[36:39], v24 offset:144
	ds_read2_b64 v[40:43], v30 offset0:64 offset1:96
	s_waitcnt lgkmcnt(2)
	v_mul_f32_e32 v6, v33, v1
	v_fma_f32 v6, v32, v0, -v6
	v_mul_f32_e32 v1, v32, v1
	v_add_f32_e32 v5, v5, v7
	v_fmac_f32_e32 v1, v33, v0
	v_add_f32_e32 v0, v4, v6
	v_mul_f32_e32 v4, v35, v3
	v_mul_f32_e32 v3, v34, v3
	v_add_f32_e32 v1, v5, v1
	v_fma_f32 v4, v34, v2, -v4
	v_fmac_f32_e32 v3, v35, v2
	s_waitcnt lgkmcnt(0)
	v_mul_f32_e32 v2, v41, v37
	v_add_f32_e32 v0, v0, v4
	v_add_f32_e32 v1, v1, v3
	v_fma_f32 v2, v40, v36, -v2
	v_mul_f32_e32 v3, v40, v37
	v_fmac_f32_e32 v3, v41, v36
	v_add_f32_e32 v32, v0, v2
	v_mul_f32_e32 v0, v43, v39
	v_add_f32_e32 v33, v1, v3
	v_fma_f32 v34, v42, v38, -v0
	ds_read_b128 v[0:3], v24 offset:160
	ds_read2_b64 v[4:7], v30 offset0:128 offset1:160
	global_load_dwordx2 v[40:41], v[18:19], off
	v_mul_f32_e32 v35, v42, v39
	v_fmac_f32_e32 v35, v43, v38
	v_add_f32_e32 v36, v32, v34
	s_waitcnt lgkmcnt(0)
	v_mul_f32_e32 v38, v5, v1
	v_mul_f32_e32 v1, v4, v1
	v_add_f32_e32 v37, v33, v35
	v_fma_f32 v38, v4, v0, -v38
	v_fmac_f32_e32 v1, v5, v0
	ds_read_b128 v[32:35], v24 offset:176
	v_add_f32_e32 v0, v36, v38
	v_add_f32_e32 v1, v37, v1
	ds_read2_b64 v[36:39], v30 offset0:192 offset1:224
	v_mul_f32_e32 v4, v7, v3
	v_mul_f32_e32 v3, v6, v3
	v_fma_f32 v4, v6, v2, -v4
	v_fmac_f32_e32 v3, v7, v2
	s_waitcnt lgkmcnt(0)
	v_mul_f32_e32 v2, v37, v33
	v_add_f32_e32 v0, v0, v4
	v_add_f32_e32 v1, v1, v3
	v_fma_f32 v2, v36, v32, -v2
	v_mul_f32_e32 v3, v36, v33
	v_fmac_f32_e32 v3, v37, v32
	v_add_f32_e32 v32, v0, v2
	v_mul_f32_e32 v0, v39, v35
	v_add_f32_e32 v33, v1, v3
	v_fma_f32 v36, v38, v34, -v0
	ds_read_b128 v[0:3], v24 offset:192
	ds_read2_b64 v[4:7], v31 offset1:32
	v_mul_f32_e32 v35, v38, v35
	v_fmac_f32_e32 v35, v39, v34
	v_add_f32_e32 v36, v32, v36
	v_add_f32_e32 v37, v33, v35
	s_waitcnt lgkmcnt(0)
	v_mul_f32_e32 v38, v5, v1
	v_mul_f32_e32 v1, v4, v1
	v_fma_f32 v38, v4, v0, -v38
	v_fmac_f32_e32 v1, v5, v0
	ds_read_b128 v[32:35], v24 offset:208
	v_add_f32_e32 v0, v36, v38
	v_add_f32_e32 v1, v37, v1
	ds_read2_b64 v[36:39], v31 offset0:64 offset1:96
	v_mul_f32_e32 v4, v7, v3
	v_mul_f32_e32 v3, v6, v3
	v_fma_f32 v4, v6, v2, -v4
	v_fmac_f32_e32 v3, v7, v2
	s_waitcnt lgkmcnt(0)
	v_mul_f32_e32 v2, v37, v33
	v_add_f32_e32 v0, v0, v4
	v_add_f32_e32 v1, v1, v3
	v_fma_f32 v2, v36, v32, -v2
	v_mul_f32_e32 v3, v36, v33
	v_fmac_f32_e32 v3, v37, v32
	v_add_f32_e32 v32, v0, v2
	v_mul_f32_e32 v0, v39, v35
	v_add_f32_e32 v33, v1, v3
	v_fma_f32 v36, v38, v34, -v0
	ds_read_b128 v[0:3], v24 offset:224
	ds_read2_b64 v[4:7], v31 offset0:128 offset1:160
	v_mul_f32_e32 v35, v38, v35
	v_fmac_f32_e32 v35, v39, v34
	v_add_f32_e32 v36, v32, v36
	v_add_f32_e32 v37, v33, v35
	s_waitcnt lgkmcnt(0)
	v_mul_f32_e32 v38, v5, v1
	v_mul_f32_e32 v1, v4, v1
	v_fma_f32 v38, v4, v0, -v38
	v_fmac_f32_e32 v1, v5, v0
	ds_read_b128 v[32:35], v24 offset:240
	v_add_f32_e32 v0, v36, v38
	v_add_f32_e32 v1, v37, v1
	ds_read2_b64 v[36:39], v31 offset0:192 offset1:224
	v_mul_f32_e32 v4, v7, v3
	v_mul_f32_e32 v3, v6, v3
	v_fmac_f32_e32 v3, v7, v2
	v_fma_f32 v4, v6, v2, -v4
	v_add_f32_e32 v1, v1, v3
	s_waitcnt lgkmcnt(0)
	v_mul_f32_e32 v2, v37, v33
	v_mul_f32_e32 v3, v36, v33
	v_add_f32_e32 v0, v0, v4
	v_fma_f32 v2, v36, v32, -v2
	v_fmac_f32_e32 v3, v37, v32
	v_add_f32_e32 v0, v0, v2
	v_add_f32_e32 v1, v1, v3
	v_mul_f32_e32 v2, v39, v35
	v_mul_f32_e32 v3, v38, v35
	v_fma_f32 v2, v38, v34, -v2
	v_fmac_f32_e32 v3, v39, v34
	v_add_f32_e32 v0, v0, v2
	v_add_f32_e32 v2, v1, v3
	v_pk_mul_f32 v[2:3], s[14:15], v[2:3] op_sel_hi:[1,0]
	s_nop 0
	v_pk_fma_f32 v[4:5], s[34:35], v[0:1], v[2:3] neg_lo:[0,0,1] neg_hi:[0,0,1]
	v_pk_fma_f32 v[0:1], s[34:35], v[0:1], v[2:3] op_sel_hi:[1,0,1]
	s_nop 0
	v_mov_b32_e32 v5, v1
	s_waitcnt vmcnt(0)
	v_pk_add_f32 v[0:1], v[40:41], v[4:5]
	global_store_dwordx2 v[18:19], v[0:1], off
	s_branch .LBB27_6
.LBB27_21:
	s_endpgm
	.section	.rodata,"a",@progbits
	.p2align	6, 0x0
	.amdhsa_kernel _ZL24rocblas_symm_hemm_kernelILb1ELb1ELi32E19rocblas_complex_numIfEPKS1_PS1_EvbiiT2_T3_lllS6_lllT4_llli
		.amdhsa_group_segment_fixed_size 16384
		.amdhsa_private_segment_fixed_size 0
		.amdhsa_kernarg_size 384
		.amdhsa_user_sgpr_count 2
		.amdhsa_user_sgpr_dispatch_ptr 0
		.amdhsa_user_sgpr_queue_ptr 0
		.amdhsa_user_sgpr_kernarg_segment_ptr 1
		.amdhsa_user_sgpr_dispatch_id 0
		.amdhsa_user_sgpr_kernarg_preload_length 0
		.amdhsa_user_sgpr_kernarg_preload_offset 0
		.amdhsa_user_sgpr_private_segment_size 0
		.amdhsa_uses_dynamic_stack 0
		.amdhsa_enable_private_segment 0
		.amdhsa_system_sgpr_workgroup_id_x 1
		.amdhsa_system_sgpr_workgroup_id_y 1
		.amdhsa_system_sgpr_workgroup_id_z 1
		.amdhsa_system_sgpr_workgroup_info 0
		.amdhsa_system_vgpr_workitem_id 1
		.amdhsa_next_free_vgpr 48
		.amdhsa_next_free_sgpr 40
		.amdhsa_accum_offset 48
		.amdhsa_reserve_vcc 1
		.amdhsa_float_round_mode_32 0
		.amdhsa_float_round_mode_16_64 0
		.amdhsa_float_denorm_mode_32 3
		.amdhsa_float_denorm_mode_16_64 3
		.amdhsa_dx10_clamp 1
		.amdhsa_ieee_mode 1
		.amdhsa_fp16_overflow 0
		.amdhsa_tg_split 0
		.amdhsa_exception_fp_ieee_invalid_op 0
		.amdhsa_exception_fp_denorm_src 0
		.amdhsa_exception_fp_ieee_div_zero 0
		.amdhsa_exception_fp_ieee_overflow 0
		.amdhsa_exception_fp_ieee_underflow 0
		.amdhsa_exception_fp_ieee_inexact 0
		.amdhsa_exception_int_div_zero 0
	.end_amdhsa_kernel
	.section	.text._ZL24rocblas_symm_hemm_kernelILb1ELb1ELi32E19rocblas_complex_numIfEPKS1_PS1_EvbiiT2_T3_lllS6_lllT4_llli,"axG",@progbits,_ZL24rocblas_symm_hemm_kernelILb1ELb1ELi32E19rocblas_complex_numIfEPKS1_PS1_EvbiiT2_T3_lllS6_lllT4_llli,comdat
.Lfunc_end27:
	.size	_ZL24rocblas_symm_hemm_kernelILb1ELb1ELi32E19rocblas_complex_numIfEPKS1_PS1_EvbiiT2_T3_lllS6_lllT4_llli, .Lfunc_end27-_ZL24rocblas_symm_hemm_kernelILb1ELb1ELi32E19rocblas_complex_numIfEPKS1_PS1_EvbiiT2_T3_lllS6_lllT4_llli
                                        ; -- End function
	.set _ZL24rocblas_symm_hemm_kernelILb1ELb1ELi32E19rocblas_complex_numIfEPKS1_PS1_EvbiiT2_T3_lllS6_lllT4_llli.num_vgpr, 48
	.set _ZL24rocblas_symm_hemm_kernelILb1ELb1ELi32E19rocblas_complex_numIfEPKS1_PS1_EvbiiT2_T3_lllS6_lllT4_llli.num_agpr, 0
	.set _ZL24rocblas_symm_hemm_kernelILb1ELb1ELi32E19rocblas_complex_numIfEPKS1_PS1_EvbiiT2_T3_lllS6_lllT4_llli.numbered_sgpr, 40
	.set _ZL24rocblas_symm_hemm_kernelILb1ELb1ELi32E19rocblas_complex_numIfEPKS1_PS1_EvbiiT2_T3_lllS6_lllT4_llli.num_named_barrier, 0
	.set _ZL24rocblas_symm_hemm_kernelILb1ELb1ELi32E19rocblas_complex_numIfEPKS1_PS1_EvbiiT2_T3_lllS6_lllT4_llli.private_seg_size, 0
	.set _ZL24rocblas_symm_hemm_kernelILb1ELb1ELi32E19rocblas_complex_numIfEPKS1_PS1_EvbiiT2_T3_lllS6_lllT4_llli.uses_vcc, 1
	.set _ZL24rocblas_symm_hemm_kernelILb1ELb1ELi32E19rocblas_complex_numIfEPKS1_PS1_EvbiiT2_T3_lllS6_lllT4_llli.uses_flat_scratch, 0
	.set _ZL24rocblas_symm_hemm_kernelILb1ELb1ELi32E19rocblas_complex_numIfEPKS1_PS1_EvbiiT2_T3_lllS6_lllT4_llli.has_dyn_sized_stack, 0
	.set _ZL24rocblas_symm_hemm_kernelILb1ELb1ELi32E19rocblas_complex_numIfEPKS1_PS1_EvbiiT2_T3_lllS6_lllT4_llli.has_recursion, 0
	.set _ZL24rocblas_symm_hemm_kernelILb1ELb1ELi32E19rocblas_complex_numIfEPKS1_PS1_EvbiiT2_T3_lllS6_lllT4_llli.has_indirect_call, 0
	.section	.AMDGPU.csdata,"",@progbits
; Kernel info:
; codeLenInByte = 2232
; TotalNumSgprs: 46
; NumVgprs: 48
; NumAgprs: 0
; TotalNumVgprs: 48
; ScratchSize: 0
; MemoryBound: 0
; FloatMode: 240
; IeeeMode: 1
; LDSByteSize: 16384 bytes/workgroup (compile time only)
; SGPRBlocks: 5
; VGPRBlocks: 5
; NumSGPRsForWavesPerEU: 46
; NumVGPRsForWavesPerEU: 48
; AccumOffset: 48
; Occupancy: 8
; WaveLimiterHint : 0
; COMPUTE_PGM_RSRC2:SCRATCH_EN: 0
; COMPUTE_PGM_RSRC2:USER_SGPR: 2
; COMPUTE_PGM_RSRC2:TRAP_HANDLER: 0
; COMPUTE_PGM_RSRC2:TGID_X_EN: 1
; COMPUTE_PGM_RSRC2:TGID_Y_EN: 1
; COMPUTE_PGM_RSRC2:TGID_Z_EN: 1
; COMPUTE_PGM_RSRC2:TIDIG_COMP_CNT: 1
; COMPUTE_PGM_RSRC3_GFX90A:ACCUM_OFFSET: 11
; COMPUTE_PGM_RSRC3_GFX90A:TG_SPLIT: 0
	.section	.text._ZL24rocblas_symm_hemm_kernelILb1ELb0ELi32EPK19rocblas_complex_numIdES3_PS1_EvbiiT2_T3_lllS6_lllT4_llli,"axG",@progbits,_ZL24rocblas_symm_hemm_kernelILb1ELb0ELi32EPK19rocblas_complex_numIdES3_PS1_EvbiiT2_T3_lllS6_lllT4_llli,comdat
	.globl	_ZL24rocblas_symm_hemm_kernelILb1ELb0ELi32EPK19rocblas_complex_numIdES3_PS1_EvbiiT2_T3_lllS6_lllT4_llli ; -- Begin function _ZL24rocblas_symm_hemm_kernelILb1ELb0ELi32EPK19rocblas_complex_numIdES3_PS1_EvbiiT2_T3_lllS6_lllT4_llli
	.p2align	8
	.type	_ZL24rocblas_symm_hemm_kernelILb1ELb0ELi32EPK19rocblas_complex_numIdES3_PS1_EvbiiT2_T3_lllS6_lllT4_llli,@function
_ZL24rocblas_symm_hemm_kernelILb1ELb0ELi32EPK19rocblas_complex_numIdES3_PS1_EvbiiT2_T3_lllS6_lllT4_llli: ; @_ZL24rocblas_symm_hemm_kernelILb1ELb0ELi32EPK19rocblas_complex_numIdES3_PS1_EvbiiT2_T3_lllS6_lllT4_llli
; %bb.0:
	s_load_dwordx16 s[8:23], s[0:1], 0x10
	s_waitcnt lgkmcnt(0)
	s_load_dwordx4 s[36:39], s[8:9], 0x0
	s_waitcnt lgkmcnt(0)
	v_cmp_eq_f64_e64 s[6:7], s[36:37], 0
	v_cmp_eq_f64_e64 s[8:9], s[38:39], 0
	s_and_b64 s[6:7], s[6:7], s[8:9]
	s_and_b64 vcc, exec, s[6:7]
	s_cbranch_vccnz .LBB28_21
; %bb.1:
	s_load_dwordx4 s[40:43], s[0:1], 0x0
	s_waitcnt lgkmcnt(0)
	s_add_i32 s5, s42, -1
	s_ashr_i32 s6, s5, 31
	s_lshr_b32 s6, s6, 27
	s_add_i32 s5, s5, s6
	s_ashr_i32 s33, s5, 5
	s_cmp_gt_i32 s3, s33
	s_cbranch_scc1 .LBB28_21
; %bb.2:
	s_load_dwordx8 s[24:31], s[0:1], 0x50
	s_load_dwordx2 s[8:9], s[0:1], 0x70
	v_and_b32_e32 v36, 0x3ff, v0
	v_lshl_add_u32 v16, s2, 5, v36
	v_ashrrev_i32_e32 v17, 31, v16
	s_waitcnt lgkmcnt(0)
	s_mul_i32 s5, s25, s4
	s_mul_hi_u32 s7, s24, s4
	s_mul_i32 s6, s24, s4
	s_add_i32 s7, s7, s5
	s_lshl_b64 s[6:7], s[6:7], 4
	s_add_u32 s5, s18, s6
	s_addc_u32 s19, s19, s7
	s_lshl_b64 s[6:7], s[20:21], 4
	s_add_u32 s18, s5, s6
	s_addc_u32 s19, s19, s7
	s_bitcmp1_b32 s40, 0
	s_load_dword s20, s[0:1], 0x84
	s_mul_i32 s0, s9, s4
	s_mul_hi_u32 s1, s8, s4
	s_cselect_b64 s[6:7], -1, 0
	s_add_i32 s1, s1, s0
	s_mul_i32 s0, s8, s4
	s_lshl_b64 s[0:1], s[0:1], 4
	s_add_u32 s5, s26, s0
	s_addc_u32 s8, s27, s1
	s_lshl_b64 s[0:1], s[28:29], 4
	s_add_u32 s0, s5, s0
	s_addc_u32 s1, s8, s1
	s_mul_i32 s5, s17, s4
	s_mul_hi_u32 s8, s16, s4
	s_add_i32 s5, s8, s5
	s_mul_i32 s4, s16, s4
	s_lshl_b64 s[4:5], s[4:5], 4
	s_add_u32 s8, s10, s4
	s_addc_u32 s9, s11, s5
	s_lshl_b64 s[4:5], s[12:13], 4
	s_add_u32 s4, s8, s4
	s_addc_u32 s5, s9, s5
	v_bfe_u32 v37, v0, 10, 10
	s_cmp_gt_i32 s41, 0
	v_lshlrev_b64 v[0:1], 4, v[16:17]
	v_mul_lo_u32 v4, s14, v17
	v_mul_lo_u32 v5, s15, v16
	v_mad_u64_u32 v[2:3], s[8:9], s14, v16, 0
	v_add3_u32 v3, v3, v4, v5
	v_lshlrev_b32_e32 v4, 4, v37
	v_lshl_add_u64 v[22:23], s[0:1], 0, v[0:1]
	s_cselect_b64 s[0:1], -1, 0
	v_lshl_add_u64 v[18:19], s[4:5], 0, v[0:1]
	v_lshlrev_b64 v[2:3], 4, v[2:3]
	v_lshlrev_b32_e32 v17, 9, v36
	v_or_b32_e32 v39, 0x4000, v4
	v_cndmask_b32_e64 v0, 0, 1, s[0:1]
	v_lshl_add_u64 v[20:21], s[4:5], 0, v[2:3]
	v_add_u32_e32 v38, v17, v4
	v_add_u32_e32 v40, v39, v17
	v_cmp_gt_i32_e64 s[8:9], s41, v16
	v_lshl_add_u64 v[24:25], v[18:19], 0, v[2:3]
	v_cmp_ne_u32_e64 s[4:5], 1, v0
	s_branch .LBB28_4
.LBB28_3:                               ;   in Loop: Header=BB28_4 Depth=1
	s_waitcnt lgkmcnt(0)
	s_add_i32 s3, s3, s20
	s_cmp_gt_i32 s3, s33
	s_cbranch_scc1 .LBB28_21
.LBB28_4:                               ; =>This Loop Header: Depth=1
                                        ;     Child Loop BB28_7 Depth 2
	s_and_b64 vcc, exec, s[4:5]
	s_cbranch_vccnz .LBB28_3
; %bb.5:                                ;   in Loop: Header=BB28_4 Depth=1
	v_lshl_add_u32 v2, s3, 5, v37
	v_ashrrev_i32_e32 v3, 31, v2
	v_mul_lo_u32 v4, s22, v3
	v_mul_lo_u32 v5, s23, v2
	v_mad_u64_u32 v[0:1], s[0:1], s22, v2, 0
	v_add3_u32 v1, v1, v4, v5
	v_lshl_add_u64 v[26:27], v[0:1], 4, s[18:19]
	v_mul_lo_u32 v3, s30, v3
	v_mul_lo_u32 v4, s31, v2
	v_mad_u64_u32 v[0:1], s[0:1], s30, v2, 0
	v_cmp_gt_i32_e32 vcc, s42, v2
	v_add3_u32 v1, v1, v3, v4
	s_and_b64 s[12:13], s[8:9], vcc
	v_lshl_add_u64 v[28:29], v[0:1], 4, v[22:23]
	s_mov_b32 s2, 0
	s_branch .LBB28_7
.LBB28_6:                               ;   in Loop: Header=BB28_7 Depth=2
	s_or_b64 exec, exec, s[0:1]
	s_add_i32 s2, s2, 32
	s_cmp_ge_i32 s2, s41
	s_barrier
	s_cbranch_scc1 .LBB28_3
.LBB28_7:                               ;   Parent Loop BB28_4 Depth=1
                                        ; =>  This Inner Loop Header: Depth=2
	v_add_u32_e32 v6, s2, v37
	v_cndmask_b32_e64 v0, v6, v16, s[6:7]
	v_cndmask_b32_e64 v1, v16, v6, s[6:7]
	v_cmp_gt_i32_e64 s[10:11], v0, v1
	v_cmp_le_i32_e64 s[0:1], v0, v1
	v_mov_b64_e32 v[2:3], 0
	v_cndmask_b32_e64 v0, v16, v6, s[10:11]
	v_cndmask_b32_e64 v1, v6, v16, s[10:11]
	v_max_i32_e32 v0, v0, v1
	v_cmp_gt_i32_e64 s[10:11], s41, v0
	v_mov_b64_e32 v[0:1], 0
	v_mov_b64_e32 v[4:5], 0
	s_and_saveexec_b64 s[16:17], s[10:11]
	s_cbranch_execz .LBB28_17
; %bb.8:                                ;   in Loop: Header=BB28_7 Depth=2
                                        ; implicit-def: $vgpr4_vgpr5
	s_and_saveexec_b64 s[10:11], s[0:1]
	s_xor_b64 s[10:11], exec, s[10:11]
	s_cbranch_execz .LBB28_14
; %bb.9:                                ;   in Loop: Header=BB28_7 Depth=2
	v_cmp_ne_u32_e64 s[0:1], v6, v16
                                        ; implicit-def: $vgpr4_vgpr5
	s_and_saveexec_b64 s[24:25], s[0:1]
	s_xor_b64 s[0:1], exec, s[24:25]
	s_cbranch_execz .LBB28_11
; %bb.10:                               ;   in Loop: Header=BB28_7 Depth=2
	v_ashrrev_i32_e32 v2, 31, v6
	v_mul_lo_u32 v4, s15, v6
	v_mul_lo_u32 v5, s14, v2
	v_mad_u64_u32 v[2:3], s[24:25], s14, v6, 0
	v_add3_u32 v3, v3, v5, v4
	v_lshl_add_u64 v[2:3], v[2:3], 4, v[18:19]
	global_load_dwordx4 v[2:5], v[2:3], off
.LBB28_11:                              ;   in Loop: Header=BB28_7 Depth=2
	s_andn2_saveexec_b64 s[0:1], s[0:1]
	s_cbranch_execz .LBB28_13
; %bb.12:                               ;   in Loop: Header=BB28_7 Depth=2
	global_load_dwordx2 v[2:3], v[24:25], off
	s_waitcnt vmcnt(1)
	v_mov_b64_e32 v[4:5], 0
.LBB28_13:                              ;   in Loop: Header=BB28_7 Depth=2
	s_or_b64 exec, exec, s[0:1]
                                        ; implicit-def: $vgpr6
.LBB28_14:                              ;   in Loop: Header=BB28_7 Depth=2
	s_andn2_saveexec_b64 s[0:1], s[10:11]
	s_cbranch_execz .LBB28_16
; %bb.15:                               ;   in Loop: Header=BB28_7 Depth=2
	v_ashrrev_i32_e32 v7, 31, v6
	s_waitcnt vmcnt(0)
	v_lshl_add_u64 v[2:3], v[6:7], 4, v[20:21]
	global_load_dwordx4 v[2:5], v[2:3], off
	s_waitcnt vmcnt(0)
	v_xor_b32_e32 v5, 0x80000000, v5
.LBB28_16:                              ;   in Loop: Header=BB28_7 Depth=2
	s_or_b64 exec, exec, s[0:1]
.LBB28_17:                              ;   in Loop: Header=BB28_7 Depth=2
	s_or_b64 exec, exec, s[16:17]
	s_waitcnt vmcnt(0)
	ds_write_b128 v38, v[2:5]
	v_add_u32_e32 v4, s2, v36
	v_cmp_gt_i32_e64 s[0:1], s41, v4
	s_and_b64 s[10:11], s[0:1], vcc
	v_mov_b64_e32 v[2:3], 0
	s_and_saveexec_b64 s[0:1], s[10:11]
	s_cbranch_execz .LBB28_19
; %bb.18:                               ;   in Loop: Header=BB28_7 Depth=2
	v_ashrrev_i32_e32 v5, 31, v4
	v_lshl_add_u64 v[0:1], v[4:5], 4, v[26:27]
	global_load_dwordx4 v[0:3], v[0:1], off
.LBB28_19:                              ;   in Loop: Header=BB28_7 Depth=2
	s_or_b64 exec, exec, s[0:1]
	s_waitcnt vmcnt(0)
	ds_write_b128 v40, v[0:3]
	s_waitcnt lgkmcnt(0)
	s_barrier
	s_and_saveexec_b64 s[0:1], s[12:13]
	s_cbranch_execz .LBB28_6
; %bb.20:                               ;   in Loop: Header=BB28_7 Depth=2
	ds_read_b128 v[0:3], v39
	ds_read_b128 v[4:7], v17
	ds_read_b128 v[8:11], v17 offset:16
	ds_read_b128 v[12:15], v17 offset:32
	;; [unrolled: 1-line block ×4, first 2 shown]
	s_waitcnt lgkmcnt(4)
	v_mul_f64 v[34:35], v[2:3], v[6:7]
	v_fma_f64 v[34:35], v[0:1], v[4:5], -v[34:35]
	v_mul_f64 v[0:1], v[0:1], v[6:7]
	v_fmac_f64_e32 v[0:1], v[2:3], v[4:5]
	v_add_f64 v[6:7], v[0:1], 0
	s_waitcnt lgkmcnt(0)
	v_mul_f64 v[0:1], v[44:45], v[10:11]
	v_add_f64 v[4:5], v[34:35], 0
	v_fma_f64 v[34:35], v[42:43], v[8:9], -v[0:1]
	ds_read_b128 v[0:3], v39 offset:1024
	v_mul_f64 v[10:11], v[42:43], v[10:11]
	v_fmac_f64_e32 v[10:11], v[44:45], v[8:9]
	v_add_f64 v[8:9], v[4:5], v[34:35]
	v_add_f64 v[10:11], v[6:7], v[10:11]
	ds_read_b128 v[4:7], v39 offset:1536
	s_waitcnt lgkmcnt(1)
	v_mul_f64 v[34:35], v[2:3], v[14:15]
	v_fma_f64 v[34:35], v[0:1], v[12:13], -v[34:35]
	v_mul_f64 v[0:1], v[0:1], v[14:15]
	v_fmac_f64_e32 v[0:1], v[2:3], v[12:13]
	v_add_f64 v[10:11], v[10:11], v[0:1]
	s_waitcnt lgkmcnt(0)
	v_mul_f64 v[0:1], v[6:7], v[32:33]
	v_mul_f64 v[14:15], v[4:5], v[32:33]
	v_fma_f64 v[12:13], v[4:5], v[30:31], -v[0:1]
	v_fmac_f64_e32 v[14:15], v[6:7], v[30:31]
	ds_read_b128 v[0:3], v39 offset:2048
	ds_read_b128 v[4:7], v17 offset:64
	v_add_f64 v[8:9], v[8:9], v[34:35]
	v_add_f64 v[30:31], v[8:9], v[12:13]
	;; [unrolled: 1-line block ×3, first 2 shown]
	ds_read_b128 v[8:11], v39 offset:2560
	ds_read_b128 v[12:15], v17 offset:80
	s_waitcnt lgkmcnt(2)
	v_mul_f64 v[34:35], v[2:3], v[6:7]
	v_fma_f64 v[34:35], v[0:1], v[4:5], -v[34:35]
	v_mul_f64 v[0:1], v[0:1], v[6:7]
	v_fmac_f64_e32 v[0:1], v[2:3], v[4:5]
	v_add_f64 v[32:33], v[32:33], v[0:1]
	s_waitcnt lgkmcnt(0)
	v_mul_f64 v[0:1], v[10:11], v[14:15]
	v_add_f64 v[30:31], v[30:31], v[34:35]
	v_fma_f64 v[34:35], v[8:9], v[12:13], -v[0:1]
	ds_read_b128 v[0:3], v39 offset:3072
	ds_read_b128 v[4:7], v17 offset:96
	v_mul_f64 v[8:9], v[8:9], v[14:15]
	v_fmac_f64_e32 v[8:9], v[10:11], v[12:13]
	v_add_f64 v[32:33], v[32:33], v[8:9]
	ds_read_b128 v[8:11], v39 offset:3584
	ds_read_b128 v[12:15], v17 offset:112
	v_add_f64 v[30:31], v[30:31], v[34:35]
	s_waitcnt lgkmcnt(2)
	v_mul_f64 v[34:35], v[2:3], v[6:7]
	v_fma_f64 v[34:35], v[0:1], v[4:5], -v[34:35]
	v_mul_f64 v[0:1], v[0:1], v[6:7]
	v_fmac_f64_e32 v[0:1], v[2:3], v[4:5]
	v_add_f64 v[32:33], v[32:33], v[0:1]
	s_waitcnt lgkmcnt(0)
	v_mul_f64 v[0:1], v[10:11], v[14:15]
	v_add_f64 v[30:31], v[30:31], v[34:35]
	v_fma_f64 v[34:35], v[8:9], v[12:13], -v[0:1]
	ds_read_b128 v[0:3], v39 offset:4096
	ds_read_b128 v[4:7], v17 offset:128
	v_mul_f64 v[8:9], v[8:9], v[14:15]
	v_fmac_f64_e32 v[8:9], v[10:11], v[12:13]
	v_add_f64 v[32:33], v[32:33], v[8:9]
	ds_read_b128 v[8:11], v39 offset:4608
	ds_read_b128 v[12:15], v17 offset:144
	v_add_f64 v[30:31], v[30:31], v[34:35]
	;; [unrolled: 18-line block ×8, first 2 shown]
	s_waitcnt lgkmcnt(2)
	v_mul_f64 v[34:35], v[2:3], v[6:7]
	v_fma_f64 v[34:35], v[0:1], v[4:5], -v[34:35]
	v_mul_f64 v[0:1], v[0:1], v[6:7]
	v_fmac_f64_e32 v[0:1], v[2:3], v[4:5]
	v_add_f64 v[32:33], v[32:33], v[0:1]
	s_waitcnt lgkmcnt(0)
	v_mul_f64 v[0:1], v[10:11], v[14:15]
	v_add_f64 v[30:31], v[30:31], v[34:35]
	v_fma_f64 v[34:35], v[8:9], v[12:13], -v[0:1]
	v_mul_f64 v[8:9], v[8:9], v[14:15]
	v_fmac_f64_e32 v[8:9], v[10:11], v[12:13]
	ds_read_b128 v[0:3], v39 offset:11264
	ds_read_b128 v[4:7], v17 offset:352
	v_add_f64 v[32:33], v[32:33], v[8:9]
	ds_read_b128 v[8:11], v39 offset:11776
	ds_read_b128 v[12:15], v17 offset:368
	global_load_dwordx4 v[42:45], v[28:29], off
	v_add_f64 v[30:31], v[30:31], v[34:35]
	s_waitcnt lgkmcnt(2)
	v_mul_f64 v[34:35], v[2:3], v[6:7]
	v_fma_f64 v[34:35], v[0:1], v[4:5], -v[34:35]
	v_mul_f64 v[0:1], v[0:1], v[6:7]
	v_fmac_f64_e32 v[0:1], v[2:3], v[4:5]
	v_add_f64 v[32:33], v[32:33], v[0:1]
	s_waitcnt lgkmcnt(0)
	v_mul_f64 v[0:1], v[10:11], v[14:15]
	v_add_f64 v[30:31], v[30:31], v[34:35]
	v_fma_f64 v[34:35], v[8:9], v[12:13], -v[0:1]
	ds_read_b128 v[0:3], v39 offset:12288
	ds_read_b128 v[4:7], v17 offset:384
	v_mul_f64 v[8:9], v[8:9], v[14:15]
	v_fmac_f64_e32 v[8:9], v[10:11], v[12:13]
	v_add_f64 v[32:33], v[32:33], v[8:9]
	ds_read_b128 v[8:11], v39 offset:12800
	ds_read_b128 v[12:15], v17 offset:400
	v_add_f64 v[30:31], v[30:31], v[34:35]
	s_waitcnt lgkmcnt(2)
	v_mul_f64 v[34:35], v[2:3], v[6:7]
	v_fma_f64 v[34:35], v[0:1], v[4:5], -v[34:35]
	v_mul_f64 v[0:1], v[0:1], v[6:7]
	v_fmac_f64_e32 v[0:1], v[2:3], v[4:5]
	v_add_f64 v[32:33], v[32:33], v[0:1]
	s_waitcnt lgkmcnt(0)
	v_mul_f64 v[0:1], v[10:11], v[14:15]
	v_add_f64 v[30:31], v[30:31], v[34:35]
	v_fma_f64 v[34:35], v[8:9], v[12:13], -v[0:1]
	ds_read_b128 v[0:3], v39 offset:13312
	ds_read_b128 v[4:7], v17 offset:416
	v_mul_f64 v[8:9], v[8:9], v[14:15]
	v_fmac_f64_e32 v[8:9], v[10:11], v[12:13]
	v_add_f64 v[32:33], v[32:33], v[8:9]
	ds_read_b128 v[8:11], v39 offset:13824
	ds_read_b128 v[12:15], v17 offset:432
	;; [unrolled: 18-line block ×3, first 2 shown]
	v_add_f64 v[30:31], v[30:31], v[34:35]
	s_waitcnt lgkmcnt(2)
	v_mul_f64 v[34:35], v[2:3], v[6:7]
	v_fma_f64 v[34:35], v[0:1], v[4:5], -v[34:35]
	v_mul_f64 v[0:1], v[0:1], v[6:7]
	v_fmac_f64_e32 v[0:1], v[2:3], v[4:5]
	v_add_f64 v[32:33], v[32:33], v[0:1]
	s_waitcnt lgkmcnt(0)
	v_mul_f64 v[0:1], v[10:11], v[14:15]
	v_add_f64 v[30:31], v[30:31], v[34:35]
	v_fma_f64 v[34:35], v[8:9], v[12:13], -v[0:1]
	v_mul_f64 v[8:9], v[8:9], v[14:15]
	ds_read_b128 v[0:3], v39 offset:15360
	ds_read_b128 v[4:7], v17 offset:480
	v_fmac_f64_e32 v[8:9], v[10:11], v[12:13]
	v_add_f64 v[32:33], v[32:33], v[8:9]
	ds_read_b128 v[8:11], v39 offset:15872
	ds_read_b128 v[12:15], v17 offset:496
	v_add_f64 v[30:31], v[30:31], v[34:35]
	s_waitcnt lgkmcnt(2)
	v_mul_f64 v[34:35], v[2:3], v[6:7]
	v_fma_f64 v[34:35], v[0:1], v[4:5], -v[34:35]
	v_mul_f64 v[0:1], v[0:1], v[6:7]
	v_fmac_f64_e32 v[0:1], v[2:3], v[4:5]
	s_waitcnt lgkmcnt(0)
	v_mul_f64 v[6:7], v[8:9], v[14:15]
	v_add_f64 v[0:1], v[32:33], v[0:1]
	v_mul_f64 v[4:5], v[10:11], v[14:15]
	v_fmac_f64_e32 v[6:7], v[10:11], v[12:13]
	v_add_f64 v[2:3], v[30:31], v[34:35]
	v_fma_f64 v[4:5], v[8:9], v[12:13], -v[4:5]
	v_add_f64 v[0:1], v[0:1], v[6:7]
	v_add_f64 v[2:3], v[2:3], v[4:5]
	v_mul_f64 v[4:5], s[38:39], v[0:1]
	v_fma_f64 v[4:5], s[36:37], v[2:3], -v[4:5]
	v_mul_f64 v[2:3], s[38:39], v[2:3]
	v_fmac_f64_e32 v[2:3], s[36:37], v[0:1]
	s_waitcnt vmcnt(0)
	v_add_f64 v[0:1], v[42:43], v[4:5]
	v_add_f64 v[2:3], v[44:45], v[2:3]
	global_store_dwordx4 v[28:29], v[0:3], off
	s_branch .LBB28_6
.LBB28_21:
	s_endpgm
	.section	.rodata,"a",@progbits
	.p2align	6, 0x0
	.amdhsa_kernel _ZL24rocblas_symm_hemm_kernelILb1ELb0ELi32EPK19rocblas_complex_numIdES3_PS1_EvbiiT2_T3_lllS6_lllT4_llli
		.amdhsa_group_segment_fixed_size 32768
		.amdhsa_private_segment_fixed_size 0
		.amdhsa_kernarg_size 384
		.amdhsa_user_sgpr_count 2
		.amdhsa_user_sgpr_dispatch_ptr 0
		.amdhsa_user_sgpr_queue_ptr 0
		.amdhsa_user_sgpr_kernarg_segment_ptr 1
		.amdhsa_user_sgpr_dispatch_id 0
		.amdhsa_user_sgpr_kernarg_preload_length 0
		.amdhsa_user_sgpr_kernarg_preload_offset 0
		.amdhsa_user_sgpr_private_segment_size 0
		.amdhsa_uses_dynamic_stack 0
		.amdhsa_enable_private_segment 0
		.amdhsa_system_sgpr_workgroup_id_x 1
		.amdhsa_system_sgpr_workgroup_id_y 1
		.amdhsa_system_sgpr_workgroup_id_z 1
		.amdhsa_system_sgpr_workgroup_info 0
		.amdhsa_system_vgpr_workitem_id 1
		.amdhsa_next_free_vgpr 46
		.amdhsa_next_free_sgpr 44
		.amdhsa_accum_offset 48
		.amdhsa_reserve_vcc 1
		.amdhsa_float_round_mode_32 0
		.amdhsa_float_round_mode_16_64 0
		.amdhsa_float_denorm_mode_32 3
		.amdhsa_float_denorm_mode_16_64 3
		.amdhsa_dx10_clamp 1
		.amdhsa_ieee_mode 1
		.amdhsa_fp16_overflow 0
		.amdhsa_tg_split 0
		.amdhsa_exception_fp_ieee_invalid_op 0
		.amdhsa_exception_fp_denorm_src 0
		.amdhsa_exception_fp_ieee_div_zero 0
		.amdhsa_exception_fp_ieee_overflow 0
		.amdhsa_exception_fp_ieee_underflow 0
		.amdhsa_exception_fp_ieee_inexact 0
		.amdhsa_exception_int_div_zero 0
	.end_amdhsa_kernel
	.section	.text._ZL24rocblas_symm_hemm_kernelILb1ELb0ELi32EPK19rocblas_complex_numIdES3_PS1_EvbiiT2_T3_lllS6_lllT4_llli,"axG",@progbits,_ZL24rocblas_symm_hemm_kernelILb1ELb0ELi32EPK19rocblas_complex_numIdES3_PS1_EvbiiT2_T3_lllS6_lllT4_llli,comdat
.Lfunc_end28:
	.size	_ZL24rocblas_symm_hemm_kernelILb1ELb0ELi32EPK19rocblas_complex_numIdES3_PS1_EvbiiT2_T3_lllS6_lllT4_llli, .Lfunc_end28-_ZL24rocblas_symm_hemm_kernelILb1ELb0ELi32EPK19rocblas_complex_numIdES3_PS1_EvbiiT2_T3_lllS6_lllT4_llli
                                        ; -- End function
	.set _ZL24rocblas_symm_hemm_kernelILb1ELb0ELi32EPK19rocblas_complex_numIdES3_PS1_EvbiiT2_T3_lllS6_lllT4_llli.num_vgpr, 46
	.set _ZL24rocblas_symm_hemm_kernelILb1ELb0ELi32EPK19rocblas_complex_numIdES3_PS1_EvbiiT2_T3_lllS6_lllT4_llli.num_agpr, 0
	.set _ZL24rocblas_symm_hemm_kernelILb1ELb0ELi32EPK19rocblas_complex_numIdES3_PS1_EvbiiT2_T3_lllS6_lllT4_llli.numbered_sgpr, 44
	.set _ZL24rocblas_symm_hemm_kernelILb1ELb0ELi32EPK19rocblas_complex_numIdES3_PS1_EvbiiT2_T3_lllS6_lllT4_llli.num_named_barrier, 0
	.set _ZL24rocblas_symm_hemm_kernelILb1ELb0ELi32EPK19rocblas_complex_numIdES3_PS1_EvbiiT2_T3_lllS6_lllT4_llli.private_seg_size, 0
	.set _ZL24rocblas_symm_hemm_kernelILb1ELb0ELi32EPK19rocblas_complex_numIdES3_PS1_EvbiiT2_T3_lllS6_lllT4_llli.uses_vcc, 1
	.set _ZL24rocblas_symm_hemm_kernelILb1ELb0ELi32EPK19rocblas_complex_numIdES3_PS1_EvbiiT2_T3_lllS6_lllT4_llli.uses_flat_scratch, 0
	.set _ZL24rocblas_symm_hemm_kernelILb1ELb0ELi32EPK19rocblas_complex_numIdES3_PS1_EvbiiT2_T3_lllS6_lllT4_llli.has_dyn_sized_stack, 0
	.set _ZL24rocblas_symm_hemm_kernelILb1ELb0ELi32EPK19rocblas_complex_numIdES3_PS1_EvbiiT2_T3_lllS6_lllT4_llli.has_recursion, 0
	.set _ZL24rocblas_symm_hemm_kernelILb1ELb0ELi32EPK19rocblas_complex_numIdES3_PS1_EvbiiT2_T3_lllS6_lllT4_llli.has_indirect_call, 0
	.section	.AMDGPU.csdata,"",@progbits
; Kernel info:
; codeLenInByte = 3028
; TotalNumSgprs: 50
; NumVgprs: 46
; NumAgprs: 0
; TotalNumVgprs: 46
; ScratchSize: 0
; MemoryBound: 1
; FloatMode: 240
; IeeeMode: 1
; LDSByteSize: 32768 bytes/workgroup (compile time only)
; SGPRBlocks: 6
; VGPRBlocks: 5
; NumSGPRsForWavesPerEU: 50
; NumVGPRsForWavesPerEU: 46
; AccumOffset: 48
; Occupancy: 8
; WaveLimiterHint : 0
; COMPUTE_PGM_RSRC2:SCRATCH_EN: 0
; COMPUTE_PGM_RSRC2:USER_SGPR: 2
; COMPUTE_PGM_RSRC2:TRAP_HANDLER: 0
; COMPUTE_PGM_RSRC2:TGID_X_EN: 1
; COMPUTE_PGM_RSRC2:TGID_Y_EN: 1
; COMPUTE_PGM_RSRC2:TGID_Z_EN: 1
; COMPUTE_PGM_RSRC2:TIDIG_COMP_CNT: 1
; COMPUTE_PGM_RSRC3_GFX90A:ACCUM_OFFSET: 11
; COMPUTE_PGM_RSRC3_GFX90A:TG_SPLIT: 0
	.section	.text._ZL24rocblas_symm_hemm_kernelILb1ELb1ELi32EPK19rocblas_complex_numIdES3_PS1_EvbiiT2_T3_lllS6_lllT4_llli,"axG",@progbits,_ZL24rocblas_symm_hemm_kernelILb1ELb1ELi32EPK19rocblas_complex_numIdES3_PS1_EvbiiT2_T3_lllS6_lllT4_llli,comdat
	.globl	_ZL24rocblas_symm_hemm_kernelILb1ELb1ELi32EPK19rocblas_complex_numIdES3_PS1_EvbiiT2_T3_lllS6_lllT4_llli ; -- Begin function _ZL24rocblas_symm_hemm_kernelILb1ELb1ELi32EPK19rocblas_complex_numIdES3_PS1_EvbiiT2_T3_lllS6_lllT4_llli
	.p2align	8
	.type	_ZL24rocblas_symm_hemm_kernelILb1ELb1ELi32EPK19rocblas_complex_numIdES3_PS1_EvbiiT2_T3_lllS6_lllT4_llli,@function
_ZL24rocblas_symm_hemm_kernelILb1ELb1ELi32EPK19rocblas_complex_numIdES3_PS1_EvbiiT2_T3_lllS6_lllT4_llli: ; @_ZL24rocblas_symm_hemm_kernelILb1ELb1ELi32EPK19rocblas_complex_numIdES3_PS1_EvbiiT2_T3_lllS6_lllT4_llli
; %bb.0:
	s_load_dwordx16 s[8:23], s[0:1], 0x10
	s_waitcnt lgkmcnt(0)
	s_load_dwordx4 s[36:39], s[8:9], 0x0
	s_waitcnt lgkmcnt(0)
	v_cmp_eq_f64_e64 s[6:7], s[36:37], 0
	v_cmp_eq_f64_e64 s[8:9], s[38:39], 0
	s_and_b64 s[6:7], s[6:7], s[8:9]
	s_and_b64 vcc, exec, s[6:7]
	s_cbranch_vccnz .LBB29_21
; %bb.1:
	s_load_dwordx4 s[40:43], s[0:1], 0x0
	s_waitcnt lgkmcnt(0)
	s_add_i32 s5, s42, -1
	s_ashr_i32 s6, s5, 31
	s_lshr_b32 s6, s6, 27
	s_add_i32 s5, s5, s6
	s_ashr_i32 s33, s5, 5
	s_cmp_gt_i32 s3, s33
	s_cbranch_scc1 .LBB29_21
; %bb.2:
	s_mul_i32 s5, s17, s4
	s_mul_hi_u32 s6, s16, s4
	s_add_i32 s7, s6, s5
	s_mul_i32 s6, s16, s4
	s_lshl_b64 s[6:7], s[6:7], 4
	s_add_u32 s5, s10, s6
	s_addc_u32 s8, s11, s7
	s_lshl_b64 s[6:7], s[12:13], 4
	s_add_u32 s10, s5, s6
	s_addc_u32 s11, s8, s7
	s_load_dwordx2 s[8:9], s[0:1], 0x70
	s_load_dwordx8 s[24:31], s[0:1], 0x50
	s_load_dword s34, s[0:1], 0x84
	s_bitcmp1_b32 s40, 0
	s_cselect_b64 s[6:7], -1, 0
	v_and_b32_e32 v36, 0x3ff, v0
	s_waitcnt lgkmcnt(0)
	s_mul_i32 s0, s9, s4
	s_mul_hi_u32 s1, s8, s4
	s_add_i32 s1, s1, s0
	s_mul_i32 s0, s8, s4
	s_lshl_b64 s[0:1], s[0:1], 4
	s_add_u32 s5, s26, s0
	s_addc_u32 s9, s27, s1
	s_lshl_b64 s[0:1], s[28:29], 4
	s_add_u32 s8, s5, s0
	s_addc_u32 s9, s9, s1
	s_mul_i32 s0, s25, s4
	s_mul_hi_u32 s1, s24, s4
	s_add_i32 s1, s1, s0
	s_mul_i32 s0, s24, s4
	s_lshl_b64 s[0:1], s[0:1], 4
	s_add_u32 s4, s18, s0
	s_addc_u32 s5, s19, s1
	s_lshl_b64 s[0:1], s[20:21], 4
	s_add_u32 s4, s4, s0
	v_lshl_add_u32 v2, s2, 5, v36
	s_addc_u32 s5, s5, s1
	v_ashrrev_i32_e32 v3, 31, v2
	v_bfe_u32 v37, v0, 10, 10
	s_cmp_gt_i32 s42, 0
	v_lshlrev_b64 v[0:1], 4, v[2:3]
	s_cselect_b64 s[12:13], -1, 0
	v_cmp_gt_i32_e64 s[0:1], s41, v2
	v_lshl_add_u64 v[16:17], s[4:5], 0, v[0:1]
	v_lshlrev_b32_e32 v2, 4, v37
	v_lshl_add_u64 v[18:19], s[8:9], 0, v[0:1]
	v_lshl_add_u32 v0, s3, 5, v37
	v_lshlrev_b32_e32 v38, 9, v36
	v_or_b32_e32 v40, 0x4000, v2
	v_sub_u32_e32 v42, 0, v0
	v_cndmask_b32_e64 v0, 0, 1, s[12:13]
	v_add_u32_e32 v39, v38, v2
	v_add_u32_e32 v41, v40, v38
	s_lshl_b32 s2, s34, 5
	v_cmp_ne_u32_e64 s[4:5], 1, v0
	s_branch .LBB29_4
.LBB29_3:                               ;   in Loop: Header=BB29_4 Depth=1
	s_add_i32 s3, s3, s34
	s_cmp_gt_i32 s3, s33
	v_subrev_u32_e32 v42, s2, v42
	s_cbranch_scc1 .LBB29_21
.LBB29_4:                               ; =>This Loop Header: Depth=1
                                        ;     Child Loop BB29_7 Depth 2
	s_and_b64 vcc, exec, s[4:5]
	s_cbranch_vccnz .LBB29_3
; %bb.5:                                ;   in Loop: Header=BB29_4 Depth=1
	v_lshl_add_u32 v20, s3, 5, v37
	v_ashrrev_i32_e32 v21, 31, v20
	v_mul_lo_u32 v2, s14, v21
	v_mul_lo_u32 v3, s15, v20
	v_mad_u64_u32 v[0:1], s[8:9], s14, v20, 0
	v_add3_u32 v1, v1, v2, v3
	v_mul_lo_u32 v4, s30, v21
	v_mul_lo_u32 v5, s31, v20
	v_mad_u64_u32 v[2:3], s[8:9], s30, v20, 0
	v_lshl_add_u64 v[22:23], v[0:1], 4, s[10:11]
	v_lshlrev_b64 v[0:1], 4, v[20:21]
	v_cmp_gt_i32_e32 vcc, s42, v20
	v_add3_u32 v3, v3, v4, v5
	v_lshl_add_u64 v[24:25], s[10:11], 0, v[0:1]
	s_and_b64 s[12:13], s[0:1], vcc
	v_lshl_add_u64 v[26:27], v[2:3], 4, v[18:19]
	v_lshl_add_u64 v[28:29], v[22:23], 0, v[0:1]
	v_add_u32_e32 v21, v36, v42
	s_mov_b32 s20, 0
	s_branch .LBB29_7
.LBB29_6:                               ;   in Loop: Header=BB29_7 Depth=2
	s_or_b64 exec, exec, s[8:9]
	s_add_i32 s20, s20, 32
	s_cmp_ge_i32 s20, s42
	s_barrier
	s_cbranch_scc1 .LBB29_3
.LBB29_7:                               ;   Parent Loop BB29_4 Depth=1
                                        ; =>  This Inner Loop Header: Depth=2
	v_add_u32_e32 v6, s20, v37
	v_cmp_gt_i32_e32 vcc, s42, v6
	s_and_b64 s[16:17], s[0:1], vcc
	v_mov_b64_e32 v[0:1], 0
	v_mov_b64_e32 v[2:3], 0
	;; [unrolled: 1-line block ×3, first 2 shown]
	s_and_saveexec_b64 s[8:9], s[16:17]
	s_cbranch_execz .LBB29_9
; %bb.8:                                ;   in Loop: Header=BB29_7 Depth=2
	v_ashrrev_i32_e32 v2, 31, v6
	v_mul_lo_u32 v4, s23, v6
	v_mul_lo_u32 v5, s22, v2
	v_mad_u64_u32 v[2:3], s[16:17], s22, v6, 0
	v_add3_u32 v3, v3, v5, v4
	v_lshl_add_u64 v[2:3], v[2:3], 4, v[16:17]
	global_load_dwordx4 v[2:5], v[2:3], off
.LBB29_9:                               ;   in Loop: Header=BB29_7 Depth=2
	s_or_b64 exec, exec, s[8:9]
	s_waitcnt vmcnt(0)
	ds_write_b128 v39, v[2:5]
	v_add_u32_e32 v4, s20, v36
	v_cndmask_b32_e64 v2, v20, v4, s[6:7]
	v_cndmask_b32_e64 v3, v4, v20, s[6:7]
	v_cmp_gt_i32_e64 s[8:9], v2, v3
	v_cmp_le_i32_e32 vcc, v2, v3
	s_nop 0
	v_cndmask_b32_e64 v2, v4, v20, s[8:9]
	v_cndmask_b32_e64 v3, v20, v4, s[8:9]
	v_max_i32_e32 v2, v2, v3
	v_cmp_gt_i32_e64 s[8:9], s42, v2
	v_mov_b64_e32 v[2:3], 0
	s_and_saveexec_b64 s[16:17], s[8:9]
	s_cbranch_execz .LBB29_19
; %bb.10:                               ;   in Loop: Header=BB29_7 Depth=2
                                        ; implicit-def: $vgpr2_vgpr3
	s_and_saveexec_b64 s[8:9], vcc
	s_xor_b64 s[8:9], exec, s[8:9]
	s_cbranch_execz .LBB29_16
; %bb.11:                               ;   in Loop: Header=BB29_7 Depth=2
	v_add_u32_e32 v0, s20, v21
	v_cmp_ne_u32_e32 vcc, 0, v0
                                        ; implicit-def: $vgpr2_vgpr3
	s_and_saveexec_b64 s[18:19], vcc
	s_xor_b64 s[18:19], exec, s[18:19]
	s_cbranch_execz .LBB29_13
; %bb.12:                               ;   in Loop: Header=BB29_7 Depth=2
	v_ashrrev_i32_e32 v5, 31, v4
	v_lshl_add_u64 v[0:1], v[4:5], 4, v[22:23]
	global_load_dwordx4 v[0:3], v[0:1], off
.LBB29_13:                              ;   in Loop: Header=BB29_7 Depth=2
	s_andn2_saveexec_b64 s[18:19], s[18:19]
	s_cbranch_execz .LBB29_15
; %bb.14:                               ;   in Loop: Header=BB29_7 Depth=2
	global_load_dwordx2 v[0:1], v[28:29], off
	s_waitcnt vmcnt(1)
	v_mov_b64_e32 v[2:3], 0
.LBB29_15:                              ;   in Loop: Header=BB29_7 Depth=2
	s_or_b64 exec, exec, s[18:19]
                                        ; implicit-def: $vgpr4
.LBB29_16:                              ;   in Loop: Header=BB29_7 Depth=2
	s_andn2_saveexec_b64 s[8:9], s[8:9]
	s_cbranch_execz .LBB29_18
; %bb.17:                               ;   in Loop: Header=BB29_7 Depth=2
	s_waitcnt vmcnt(0)
	v_ashrrev_i32_e32 v0, 31, v4
	v_mul_lo_u32 v2, s15, v4
	v_mul_lo_u32 v3, s14, v0
	v_mad_u64_u32 v[0:1], s[18:19], s14, v4, 0
	v_add3_u32 v1, v1, v3, v2
	v_lshl_add_u64 v[0:1], v[0:1], 4, v[24:25]
	global_load_dwordx4 v[0:3], v[0:1], off
	s_waitcnt vmcnt(0)
	v_xor_b32_e32 v3, 0x80000000, v3
.LBB29_18:                              ;   in Loop: Header=BB29_7 Depth=2
	s_or_b64 exec, exec, s[8:9]
.LBB29_19:                              ;   in Loop: Header=BB29_7 Depth=2
	s_or_b64 exec, exec, s[16:17]
	s_waitcnt vmcnt(0)
	ds_write_b128 v41, v[0:3]
	s_waitcnt lgkmcnt(0)
	s_barrier
	s_and_saveexec_b64 s[8:9], s[12:13]
	s_cbranch_execz .LBB29_6
; %bb.20:                               ;   in Loop: Header=BB29_7 Depth=2
	ds_read_b128 v[0:3], v40
	ds_read_b128 v[4:7], v38
	ds_read_b128 v[8:11], v38 offset:16
	ds_read_b128 v[12:15], v38 offset:32
	;; [unrolled: 1-line block ×4, first 2 shown]
	s_waitcnt lgkmcnt(4)
	v_mul_f64 v[34:35], v[2:3], v[6:7]
	v_fma_f64 v[34:35], v[0:1], v[4:5], -v[34:35]
	v_mul_f64 v[0:1], v[0:1], v[6:7]
	v_fmac_f64_e32 v[0:1], v[2:3], v[4:5]
	v_add_f64 v[6:7], v[0:1], 0
	s_waitcnt lgkmcnt(0)
	v_mul_f64 v[0:1], v[46:47], v[10:11]
	v_add_f64 v[4:5], v[34:35], 0
	v_fma_f64 v[34:35], v[44:45], v[8:9], -v[0:1]
	ds_read_b128 v[0:3], v40 offset:1024
	v_mul_f64 v[10:11], v[44:45], v[10:11]
	v_fmac_f64_e32 v[10:11], v[46:47], v[8:9]
	v_add_f64 v[8:9], v[4:5], v[34:35]
	v_add_f64 v[10:11], v[6:7], v[10:11]
	ds_read_b128 v[4:7], v40 offset:1536
	s_waitcnt lgkmcnt(1)
	v_mul_f64 v[34:35], v[2:3], v[14:15]
	v_fma_f64 v[34:35], v[0:1], v[12:13], -v[34:35]
	v_mul_f64 v[0:1], v[0:1], v[14:15]
	v_fmac_f64_e32 v[0:1], v[2:3], v[12:13]
	v_add_f64 v[10:11], v[10:11], v[0:1]
	s_waitcnt lgkmcnt(0)
	v_mul_f64 v[0:1], v[6:7], v[32:33]
	v_mul_f64 v[14:15], v[4:5], v[32:33]
	v_fma_f64 v[12:13], v[4:5], v[30:31], -v[0:1]
	v_fmac_f64_e32 v[14:15], v[6:7], v[30:31]
	ds_read_b128 v[0:3], v40 offset:2048
	ds_read_b128 v[4:7], v38 offset:64
	v_add_f64 v[8:9], v[8:9], v[34:35]
	v_add_f64 v[30:31], v[8:9], v[12:13]
	;; [unrolled: 1-line block ×3, first 2 shown]
	ds_read_b128 v[8:11], v40 offset:2560
	ds_read_b128 v[12:15], v38 offset:80
	s_waitcnt lgkmcnt(2)
	v_mul_f64 v[34:35], v[2:3], v[6:7]
	v_fma_f64 v[34:35], v[0:1], v[4:5], -v[34:35]
	v_mul_f64 v[0:1], v[0:1], v[6:7]
	v_fmac_f64_e32 v[0:1], v[2:3], v[4:5]
	v_add_f64 v[32:33], v[32:33], v[0:1]
	s_waitcnt lgkmcnt(0)
	v_mul_f64 v[0:1], v[10:11], v[14:15]
	v_add_f64 v[30:31], v[30:31], v[34:35]
	v_fma_f64 v[34:35], v[8:9], v[12:13], -v[0:1]
	ds_read_b128 v[0:3], v40 offset:3072
	ds_read_b128 v[4:7], v38 offset:96
	v_mul_f64 v[8:9], v[8:9], v[14:15]
	v_fmac_f64_e32 v[8:9], v[10:11], v[12:13]
	v_add_f64 v[32:33], v[32:33], v[8:9]
	ds_read_b128 v[8:11], v40 offset:3584
	ds_read_b128 v[12:15], v38 offset:112
	v_add_f64 v[30:31], v[30:31], v[34:35]
	s_waitcnt lgkmcnt(2)
	v_mul_f64 v[34:35], v[2:3], v[6:7]
	v_fma_f64 v[34:35], v[0:1], v[4:5], -v[34:35]
	v_mul_f64 v[0:1], v[0:1], v[6:7]
	v_fmac_f64_e32 v[0:1], v[2:3], v[4:5]
	v_add_f64 v[32:33], v[32:33], v[0:1]
	s_waitcnt lgkmcnt(0)
	v_mul_f64 v[0:1], v[10:11], v[14:15]
	v_add_f64 v[30:31], v[30:31], v[34:35]
	v_fma_f64 v[34:35], v[8:9], v[12:13], -v[0:1]
	ds_read_b128 v[0:3], v40 offset:4096
	ds_read_b128 v[4:7], v38 offset:128
	v_mul_f64 v[8:9], v[8:9], v[14:15]
	v_fmac_f64_e32 v[8:9], v[10:11], v[12:13]
	v_add_f64 v[32:33], v[32:33], v[8:9]
	ds_read_b128 v[8:11], v40 offset:4608
	ds_read_b128 v[12:15], v38 offset:144
	v_add_f64 v[30:31], v[30:31], v[34:35]
	;; [unrolled: 18-line block ×8, first 2 shown]
	s_waitcnt lgkmcnt(2)
	v_mul_f64 v[34:35], v[2:3], v[6:7]
	v_fma_f64 v[34:35], v[0:1], v[4:5], -v[34:35]
	v_mul_f64 v[0:1], v[0:1], v[6:7]
	v_fmac_f64_e32 v[0:1], v[2:3], v[4:5]
	v_add_f64 v[32:33], v[32:33], v[0:1]
	s_waitcnt lgkmcnt(0)
	v_mul_f64 v[0:1], v[10:11], v[14:15]
	v_add_f64 v[30:31], v[30:31], v[34:35]
	v_fma_f64 v[34:35], v[8:9], v[12:13], -v[0:1]
	v_mul_f64 v[8:9], v[8:9], v[14:15]
	v_fmac_f64_e32 v[8:9], v[10:11], v[12:13]
	ds_read_b128 v[0:3], v40 offset:11264
	ds_read_b128 v[4:7], v38 offset:352
	v_add_f64 v[32:33], v[32:33], v[8:9]
	ds_read_b128 v[8:11], v40 offset:11776
	ds_read_b128 v[12:15], v38 offset:368
	global_load_dwordx4 v[44:47], v[26:27], off
	v_add_f64 v[30:31], v[30:31], v[34:35]
	s_waitcnt lgkmcnt(2)
	v_mul_f64 v[34:35], v[2:3], v[6:7]
	v_fma_f64 v[34:35], v[0:1], v[4:5], -v[34:35]
	v_mul_f64 v[0:1], v[0:1], v[6:7]
	v_fmac_f64_e32 v[0:1], v[2:3], v[4:5]
	v_add_f64 v[32:33], v[32:33], v[0:1]
	s_waitcnt lgkmcnt(0)
	v_mul_f64 v[0:1], v[10:11], v[14:15]
	v_add_f64 v[30:31], v[30:31], v[34:35]
	v_fma_f64 v[34:35], v[8:9], v[12:13], -v[0:1]
	ds_read_b128 v[0:3], v40 offset:12288
	ds_read_b128 v[4:7], v38 offset:384
	v_mul_f64 v[8:9], v[8:9], v[14:15]
	v_fmac_f64_e32 v[8:9], v[10:11], v[12:13]
	v_add_f64 v[32:33], v[32:33], v[8:9]
	ds_read_b128 v[8:11], v40 offset:12800
	ds_read_b128 v[12:15], v38 offset:400
	v_add_f64 v[30:31], v[30:31], v[34:35]
	s_waitcnt lgkmcnt(2)
	v_mul_f64 v[34:35], v[2:3], v[6:7]
	v_fma_f64 v[34:35], v[0:1], v[4:5], -v[34:35]
	v_mul_f64 v[0:1], v[0:1], v[6:7]
	v_fmac_f64_e32 v[0:1], v[2:3], v[4:5]
	v_add_f64 v[32:33], v[32:33], v[0:1]
	s_waitcnt lgkmcnt(0)
	v_mul_f64 v[0:1], v[10:11], v[14:15]
	v_add_f64 v[30:31], v[30:31], v[34:35]
	v_fma_f64 v[34:35], v[8:9], v[12:13], -v[0:1]
	ds_read_b128 v[0:3], v40 offset:13312
	ds_read_b128 v[4:7], v38 offset:416
	v_mul_f64 v[8:9], v[8:9], v[14:15]
	v_fmac_f64_e32 v[8:9], v[10:11], v[12:13]
	v_add_f64 v[32:33], v[32:33], v[8:9]
	ds_read_b128 v[8:11], v40 offset:13824
	ds_read_b128 v[12:15], v38 offset:432
	;; [unrolled: 18-line block ×3, first 2 shown]
	v_add_f64 v[30:31], v[30:31], v[34:35]
	s_waitcnt lgkmcnt(2)
	v_mul_f64 v[34:35], v[2:3], v[6:7]
	v_fma_f64 v[34:35], v[0:1], v[4:5], -v[34:35]
	v_mul_f64 v[0:1], v[0:1], v[6:7]
	v_fmac_f64_e32 v[0:1], v[2:3], v[4:5]
	v_add_f64 v[32:33], v[32:33], v[0:1]
	s_waitcnt lgkmcnt(0)
	v_mul_f64 v[0:1], v[10:11], v[14:15]
	v_add_f64 v[30:31], v[30:31], v[34:35]
	v_fma_f64 v[34:35], v[8:9], v[12:13], -v[0:1]
	v_mul_f64 v[8:9], v[8:9], v[14:15]
	ds_read_b128 v[0:3], v40 offset:15360
	ds_read_b128 v[4:7], v38 offset:480
	v_fmac_f64_e32 v[8:9], v[10:11], v[12:13]
	v_add_f64 v[32:33], v[32:33], v[8:9]
	ds_read_b128 v[8:11], v40 offset:15872
	ds_read_b128 v[12:15], v38 offset:496
	v_add_f64 v[30:31], v[30:31], v[34:35]
	s_waitcnt lgkmcnt(2)
	v_mul_f64 v[34:35], v[2:3], v[6:7]
	v_fma_f64 v[34:35], v[0:1], v[4:5], -v[34:35]
	v_mul_f64 v[0:1], v[0:1], v[6:7]
	v_fmac_f64_e32 v[0:1], v[2:3], v[4:5]
	s_waitcnt lgkmcnt(0)
	v_mul_f64 v[6:7], v[8:9], v[14:15]
	v_add_f64 v[0:1], v[32:33], v[0:1]
	v_mul_f64 v[4:5], v[10:11], v[14:15]
	v_fmac_f64_e32 v[6:7], v[10:11], v[12:13]
	v_add_f64 v[2:3], v[30:31], v[34:35]
	v_fma_f64 v[4:5], v[8:9], v[12:13], -v[4:5]
	v_add_f64 v[0:1], v[0:1], v[6:7]
	v_add_f64 v[2:3], v[2:3], v[4:5]
	v_mul_f64 v[4:5], s[38:39], v[0:1]
	v_fma_f64 v[4:5], s[36:37], v[2:3], -v[4:5]
	v_mul_f64 v[2:3], s[38:39], v[2:3]
	v_fmac_f64_e32 v[2:3], s[36:37], v[0:1]
	s_waitcnt vmcnt(0)
	v_add_f64 v[0:1], v[44:45], v[4:5]
	v_add_f64 v[2:3], v[46:47], v[2:3]
	global_store_dwordx4 v[26:27], v[0:3], off
	s_branch .LBB29_6
.LBB29_21:
	s_endpgm
	.section	.rodata,"a",@progbits
	.p2align	6, 0x0
	.amdhsa_kernel _ZL24rocblas_symm_hemm_kernelILb1ELb1ELi32EPK19rocblas_complex_numIdES3_PS1_EvbiiT2_T3_lllS6_lllT4_llli
		.amdhsa_group_segment_fixed_size 32768
		.amdhsa_private_segment_fixed_size 0
		.amdhsa_kernarg_size 384
		.amdhsa_user_sgpr_count 2
		.amdhsa_user_sgpr_dispatch_ptr 0
		.amdhsa_user_sgpr_queue_ptr 0
		.amdhsa_user_sgpr_kernarg_segment_ptr 1
		.amdhsa_user_sgpr_dispatch_id 0
		.amdhsa_user_sgpr_kernarg_preload_length 0
		.amdhsa_user_sgpr_kernarg_preload_offset 0
		.amdhsa_user_sgpr_private_segment_size 0
		.amdhsa_uses_dynamic_stack 0
		.amdhsa_enable_private_segment 0
		.amdhsa_system_sgpr_workgroup_id_x 1
		.amdhsa_system_sgpr_workgroup_id_y 1
		.amdhsa_system_sgpr_workgroup_id_z 1
		.amdhsa_system_sgpr_workgroup_info 0
		.amdhsa_system_vgpr_workitem_id 1
		.amdhsa_next_free_vgpr 48
		.amdhsa_next_free_sgpr 44
		.amdhsa_accum_offset 48
		.amdhsa_reserve_vcc 1
		.amdhsa_float_round_mode_32 0
		.amdhsa_float_round_mode_16_64 0
		.amdhsa_float_denorm_mode_32 3
		.amdhsa_float_denorm_mode_16_64 3
		.amdhsa_dx10_clamp 1
		.amdhsa_ieee_mode 1
		.amdhsa_fp16_overflow 0
		.amdhsa_tg_split 0
		.amdhsa_exception_fp_ieee_invalid_op 0
		.amdhsa_exception_fp_denorm_src 0
		.amdhsa_exception_fp_ieee_div_zero 0
		.amdhsa_exception_fp_ieee_overflow 0
		.amdhsa_exception_fp_ieee_underflow 0
		.amdhsa_exception_fp_ieee_inexact 0
		.amdhsa_exception_int_div_zero 0
	.end_amdhsa_kernel
	.section	.text._ZL24rocblas_symm_hemm_kernelILb1ELb1ELi32EPK19rocblas_complex_numIdES3_PS1_EvbiiT2_T3_lllS6_lllT4_llli,"axG",@progbits,_ZL24rocblas_symm_hemm_kernelILb1ELb1ELi32EPK19rocblas_complex_numIdES3_PS1_EvbiiT2_T3_lllS6_lllT4_llli,comdat
.Lfunc_end29:
	.size	_ZL24rocblas_symm_hemm_kernelILb1ELb1ELi32EPK19rocblas_complex_numIdES3_PS1_EvbiiT2_T3_lllS6_lllT4_llli, .Lfunc_end29-_ZL24rocblas_symm_hemm_kernelILb1ELb1ELi32EPK19rocblas_complex_numIdES3_PS1_EvbiiT2_T3_lllS6_lllT4_llli
                                        ; -- End function
	.set _ZL24rocblas_symm_hemm_kernelILb1ELb1ELi32EPK19rocblas_complex_numIdES3_PS1_EvbiiT2_T3_lllS6_lllT4_llli.num_vgpr, 48
	.set _ZL24rocblas_symm_hemm_kernelILb1ELb1ELi32EPK19rocblas_complex_numIdES3_PS1_EvbiiT2_T3_lllS6_lllT4_llli.num_agpr, 0
	.set _ZL24rocblas_symm_hemm_kernelILb1ELb1ELi32EPK19rocblas_complex_numIdES3_PS1_EvbiiT2_T3_lllS6_lllT4_llli.numbered_sgpr, 44
	.set _ZL24rocblas_symm_hemm_kernelILb1ELb1ELi32EPK19rocblas_complex_numIdES3_PS1_EvbiiT2_T3_lllS6_lllT4_llli.num_named_barrier, 0
	.set _ZL24rocblas_symm_hemm_kernelILb1ELb1ELi32EPK19rocblas_complex_numIdES3_PS1_EvbiiT2_T3_lllS6_lllT4_llli.private_seg_size, 0
	.set _ZL24rocblas_symm_hemm_kernelILb1ELb1ELi32EPK19rocblas_complex_numIdES3_PS1_EvbiiT2_T3_lllS6_lllT4_llli.uses_vcc, 1
	.set _ZL24rocblas_symm_hemm_kernelILb1ELb1ELi32EPK19rocblas_complex_numIdES3_PS1_EvbiiT2_T3_lllS6_lllT4_llli.uses_flat_scratch, 0
	.set _ZL24rocblas_symm_hemm_kernelILb1ELb1ELi32EPK19rocblas_complex_numIdES3_PS1_EvbiiT2_T3_lllS6_lllT4_llli.has_dyn_sized_stack, 0
	.set _ZL24rocblas_symm_hemm_kernelILb1ELb1ELi32EPK19rocblas_complex_numIdES3_PS1_EvbiiT2_T3_lllS6_lllT4_llli.has_recursion, 0
	.set _ZL24rocblas_symm_hemm_kernelILb1ELb1ELi32EPK19rocblas_complex_numIdES3_PS1_EvbiiT2_T3_lllS6_lllT4_llli.has_indirect_call, 0
	.section	.AMDGPU.csdata,"",@progbits
; Kernel info:
; codeLenInByte = 3044
; TotalNumSgprs: 50
; NumVgprs: 48
; NumAgprs: 0
; TotalNumVgprs: 48
; ScratchSize: 0
; MemoryBound: 1
; FloatMode: 240
; IeeeMode: 1
; LDSByteSize: 32768 bytes/workgroup (compile time only)
; SGPRBlocks: 6
; VGPRBlocks: 5
; NumSGPRsForWavesPerEU: 50
; NumVGPRsForWavesPerEU: 48
; AccumOffset: 48
; Occupancy: 8
; WaveLimiterHint : 0
; COMPUTE_PGM_RSRC2:SCRATCH_EN: 0
; COMPUTE_PGM_RSRC2:USER_SGPR: 2
; COMPUTE_PGM_RSRC2:TRAP_HANDLER: 0
; COMPUTE_PGM_RSRC2:TGID_X_EN: 1
; COMPUTE_PGM_RSRC2:TGID_Y_EN: 1
; COMPUTE_PGM_RSRC2:TGID_Z_EN: 1
; COMPUTE_PGM_RSRC2:TIDIG_COMP_CNT: 1
; COMPUTE_PGM_RSRC3_GFX90A:ACCUM_OFFSET: 11
; COMPUTE_PGM_RSRC3_GFX90A:TG_SPLIT: 0
	.section	.text._ZL24rocblas_symm_hemm_kernelILb1ELb0ELi32E19rocblas_complex_numIdEPKS1_PS1_EvbiiT2_T3_lllS6_lllT4_llli,"axG",@progbits,_ZL24rocblas_symm_hemm_kernelILb1ELb0ELi32E19rocblas_complex_numIdEPKS1_PS1_EvbiiT2_T3_lllS6_lllT4_llli,comdat
	.globl	_ZL24rocblas_symm_hemm_kernelILb1ELb0ELi32E19rocblas_complex_numIdEPKS1_PS1_EvbiiT2_T3_lllS6_lllT4_llli ; -- Begin function _ZL24rocblas_symm_hemm_kernelILb1ELb0ELi32E19rocblas_complex_numIdEPKS1_PS1_EvbiiT2_T3_lllS6_lllT4_llli
	.p2align	8
	.type	_ZL24rocblas_symm_hemm_kernelILb1ELb0ELi32E19rocblas_complex_numIdEPKS1_PS1_EvbiiT2_T3_lllS6_lllT4_llli,@function
_ZL24rocblas_symm_hemm_kernelILb1ELb0ELi32E19rocblas_complex_numIdEPKS1_PS1_EvbiiT2_T3_lllS6_lllT4_llli: ; @_ZL24rocblas_symm_hemm_kernelILb1ELb0ELi32E19rocblas_complex_numIdEPKS1_PS1_EvbiiT2_T3_lllS6_lllT4_llli
; %bb.0:
	s_load_dwordx16 s[12:27], s[0:1], 0x10
	s_waitcnt lgkmcnt(0)
	v_cmp_eq_f64_e64 s[6:7], s[12:13], 0
	v_cmp_eq_f64_e64 s[8:9], s[14:15], 0
	s_and_b64 s[6:7], s[6:7], s[8:9]
	s_and_b64 vcc, exec, s[6:7]
	s_cbranch_vccnz .LBB30_21
; %bb.1:
	s_load_dwordx4 s[28:31], s[0:1], 0x0
	s_waitcnt lgkmcnt(0)
	s_add_i32 s5, s30, -1
	s_ashr_i32 s6, s5, 31
	s_lshr_b32 s6, s6, 27
	s_add_i32 s5, s5, s6
	s_ashr_i32 s31, s5, 5
	s_cmp_gt_i32 s3, s31
	s_cbranch_scc1 .LBB30_21
; %bb.2:
	s_load_dwordx8 s[36:43], s[0:1], 0x50
	s_load_dwordx4 s[44:47], s[0:1], 0x70
	v_and_b32_e32 v36, 0x3ff, v0
	v_lshl_add_u32 v16, s2, 5, v36
	v_ashrrev_i32_e32 v17, 31, v16
	s_waitcnt lgkmcnt(0)
	s_mul_i32 s5, s39, s4
	s_mul_hi_u32 s7, s38, s4
	s_mul_i32 s6, s38, s4
	s_add_i32 s7, s7, s5
	s_lshl_b64 s[6:7], s[6:7], 4
	s_add_u32 s5, s24, s6
	s_addc_u32 s8, s25, s7
	s_lshl_b64 s[6:7], s[26:27], 4
	s_add_u32 s24, s5, s6
	s_addc_u32 s25, s8, s7
	s_bitcmp1_b32 s28, 0
	s_load_dword s26, s[0:1], 0x8c
	s_mul_i32 s0, s47, s4
	s_mul_hi_u32 s1, s46, s4
	s_cselect_b64 s[6:7], -1, 0
	s_add_i32 s1, s1, s0
	s_mul_i32 s0, s46, s4
	s_lshl_b64 s[0:1], s[0:1], 4
	s_add_u32 s5, s40, s0
	s_addc_u32 s8, s41, s1
	s_lshl_b64 s[0:1], s[42:43], 4
	s_add_u32 s0, s5, s0
	s_addc_u32 s1, s8, s1
	s_mul_i32 s5, s23, s4
	s_mul_hi_u32 s8, s22, s4
	s_add_i32 s5, s8, s5
	s_mul_i32 s4, s22, s4
	s_lshl_b64 s[4:5], s[4:5], 4
	s_add_u32 s8, s16, s4
	s_addc_u32 s9, s17, s5
	s_lshl_b64 s[4:5], s[18:19], 4
	s_add_u32 s4, s8, s4
	s_addc_u32 s5, s9, s5
	v_bfe_u32 v37, v0, 10, 10
	s_cmp_gt_i32 s29, 0
	v_lshlrev_b64 v[0:1], 4, v[16:17]
	v_mul_lo_u32 v4, s20, v17
	v_mul_lo_u32 v5, s21, v16
	v_mad_u64_u32 v[2:3], s[8:9], s20, v16, 0
	v_add3_u32 v3, v3, v4, v5
	v_lshlrev_b32_e32 v4, 4, v37
	v_lshl_add_u64 v[22:23], s[0:1], 0, v[0:1]
	s_cselect_b64 s[0:1], -1, 0
	v_lshl_add_u64 v[18:19], s[4:5], 0, v[0:1]
	v_lshlrev_b64 v[2:3], 4, v[2:3]
	v_lshlrev_b32_e32 v17, 9, v36
	v_or_b32_e32 v39, 0x4000, v4
	v_cndmask_b32_e64 v0, 0, 1, s[0:1]
	v_lshl_add_u64 v[20:21], s[4:5], 0, v[2:3]
	v_add_u32_e32 v38, v17, v4
	v_add_u32_e32 v40, v39, v17
	v_cmp_gt_i32_e64 s[8:9], s29, v16
	v_lshl_add_u64 v[24:25], v[18:19], 0, v[2:3]
	v_cmp_ne_u32_e64 s[4:5], 1, v0
	s_branch .LBB30_4
.LBB30_3:                               ;   in Loop: Header=BB30_4 Depth=1
	s_waitcnt lgkmcnt(0)
	s_add_i32 s3, s3, s26
	s_cmp_gt_i32 s3, s31
	s_cbranch_scc1 .LBB30_21
.LBB30_4:                               ; =>This Loop Header: Depth=1
                                        ;     Child Loop BB30_7 Depth 2
	s_and_b64 vcc, exec, s[4:5]
	s_cbranch_vccnz .LBB30_3
; %bb.5:                                ;   in Loop: Header=BB30_4 Depth=1
	v_lshl_add_u32 v2, s3, 5, v37
	v_ashrrev_i32_e32 v3, 31, v2
	v_mul_lo_u32 v4, s36, v3
	v_mul_lo_u32 v5, s37, v2
	v_mad_u64_u32 v[0:1], s[0:1], s36, v2, 0
	v_add3_u32 v1, v1, v4, v5
	v_lshl_add_u64 v[26:27], v[0:1], 4, s[24:25]
	v_mul_lo_u32 v3, s44, v3
	v_mul_lo_u32 v4, s45, v2
	v_mad_u64_u32 v[0:1], s[0:1], s44, v2, 0
	v_cmp_gt_i32_e32 vcc, s30, v2
	v_add3_u32 v1, v1, v3, v4
	s_and_b64 s[16:17], s[8:9], vcc
	v_lshl_add_u64 v[28:29], v[0:1], 4, v[22:23]
	s_mov_b32 s2, 0
	s_branch .LBB30_7
.LBB30_6:                               ;   in Loop: Header=BB30_7 Depth=2
	s_or_b64 exec, exec, s[0:1]
	s_add_i32 s2, s2, 32
	s_cmp_ge_i32 s2, s29
	s_barrier
	s_cbranch_scc1 .LBB30_3
.LBB30_7:                               ;   Parent Loop BB30_4 Depth=1
                                        ; =>  This Inner Loop Header: Depth=2
	v_add_u32_e32 v6, s2, v37
	v_cndmask_b32_e64 v0, v6, v16, s[6:7]
	v_cndmask_b32_e64 v1, v16, v6, s[6:7]
	v_cmp_gt_i32_e64 s[10:11], v0, v1
	v_cmp_le_i32_e64 s[0:1], v0, v1
	v_mov_b64_e32 v[2:3], 0
	v_cndmask_b32_e64 v0, v16, v6, s[10:11]
	v_cndmask_b32_e64 v1, v6, v16, s[10:11]
	v_max_i32_e32 v0, v0, v1
	v_cmp_gt_i32_e64 s[10:11], s29, v0
	v_mov_b64_e32 v[0:1], 0
	v_mov_b64_e32 v[4:5], 0
	s_and_saveexec_b64 s[18:19], s[10:11]
	s_cbranch_execz .LBB30_17
; %bb.8:                                ;   in Loop: Header=BB30_7 Depth=2
                                        ; implicit-def: $vgpr4_vgpr5
	s_and_saveexec_b64 s[10:11], s[0:1]
	s_xor_b64 s[10:11], exec, s[10:11]
	s_cbranch_execz .LBB30_14
; %bb.9:                                ;   in Loop: Header=BB30_7 Depth=2
	v_cmp_ne_u32_e64 s[0:1], v6, v16
                                        ; implicit-def: $vgpr4_vgpr5
	s_and_saveexec_b64 s[22:23], s[0:1]
	s_xor_b64 s[0:1], exec, s[22:23]
	s_cbranch_execz .LBB30_11
; %bb.10:                               ;   in Loop: Header=BB30_7 Depth=2
	v_ashrrev_i32_e32 v2, 31, v6
	v_mul_lo_u32 v4, s21, v6
	v_mul_lo_u32 v5, s20, v2
	v_mad_u64_u32 v[2:3], s[22:23], s20, v6, 0
	v_add3_u32 v3, v3, v5, v4
	v_lshl_add_u64 v[2:3], v[2:3], 4, v[18:19]
	global_load_dwordx4 v[2:5], v[2:3], off
.LBB30_11:                              ;   in Loop: Header=BB30_7 Depth=2
	s_andn2_saveexec_b64 s[0:1], s[0:1]
	s_cbranch_execz .LBB30_13
; %bb.12:                               ;   in Loop: Header=BB30_7 Depth=2
	global_load_dwordx2 v[2:3], v[24:25], off
	s_waitcnt vmcnt(1)
	v_mov_b64_e32 v[4:5], 0
.LBB30_13:                              ;   in Loop: Header=BB30_7 Depth=2
	s_or_b64 exec, exec, s[0:1]
                                        ; implicit-def: $vgpr6
.LBB30_14:                              ;   in Loop: Header=BB30_7 Depth=2
	s_andn2_saveexec_b64 s[0:1], s[10:11]
	s_cbranch_execz .LBB30_16
; %bb.15:                               ;   in Loop: Header=BB30_7 Depth=2
	v_ashrrev_i32_e32 v7, 31, v6
	s_waitcnt vmcnt(0)
	v_lshl_add_u64 v[2:3], v[6:7], 4, v[20:21]
	global_load_dwordx4 v[2:5], v[2:3], off
	s_waitcnt vmcnt(0)
	v_xor_b32_e32 v5, 0x80000000, v5
.LBB30_16:                              ;   in Loop: Header=BB30_7 Depth=2
	s_or_b64 exec, exec, s[0:1]
.LBB30_17:                              ;   in Loop: Header=BB30_7 Depth=2
	s_or_b64 exec, exec, s[18:19]
	s_waitcnt vmcnt(0)
	ds_write_b128 v38, v[2:5]
	v_add_u32_e32 v4, s2, v36
	v_cmp_gt_i32_e64 s[0:1], s29, v4
	s_and_b64 s[10:11], s[0:1], vcc
	v_mov_b64_e32 v[2:3], 0
	s_and_saveexec_b64 s[0:1], s[10:11]
	s_cbranch_execz .LBB30_19
; %bb.18:                               ;   in Loop: Header=BB30_7 Depth=2
	v_ashrrev_i32_e32 v5, 31, v4
	v_lshl_add_u64 v[0:1], v[4:5], 4, v[26:27]
	global_load_dwordx4 v[0:3], v[0:1], off
.LBB30_19:                              ;   in Loop: Header=BB30_7 Depth=2
	s_or_b64 exec, exec, s[0:1]
	s_waitcnt vmcnt(0)
	ds_write_b128 v40, v[0:3]
	s_waitcnt lgkmcnt(0)
	s_barrier
	s_and_saveexec_b64 s[0:1], s[16:17]
	s_cbranch_execz .LBB30_6
; %bb.20:                               ;   in Loop: Header=BB30_7 Depth=2
	ds_read_b128 v[0:3], v39
	ds_read_b128 v[4:7], v17
	ds_read_b128 v[8:11], v17 offset:16
	ds_read_b128 v[12:15], v17 offset:32
	;; [unrolled: 1-line block ×4, first 2 shown]
	s_waitcnt lgkmcnt(4)
	v_mul_f64 v[34:35], v[2:3], v[6:7]
	v_fma_f64 v[34:35], v[0:1], v[4:5], -v[34:35]
	v_mul_f64 v[0:1], v[0:1], v[6:7]
	v_fmac_f64_e32 v[0:1], v[2:3], v[4:5]
	v_add_f64 v[6:7], v[0:1], 0
	s_waitcnt lgkmcnt(0)
	v_mul_f64 v[0:1], v[44:45], v[10:11]
	v_add_f64 v[4:5], v[34:35], 0
	v_fma_f64 v[34:35], v[42:43], v[8:9], -v[0:1]
	ds_read_b128 v[0:3], v39 offset:1024
	v_mul_f64 v[10:11], v[42:43], v[10:11]
	v_fmac_f64_e32 v[10:11], v[44:45], v[8:9]
	v_add_f64 v[8:9], v[4:5], v[34:35]
	v_add_f64 v[10:11], v[6:7], v[10:11]
	ds_read_b128 v[4:7], v39 offset:1536
	s_waitcnt lgkmcnt(1)
	v_mul_f64 v[34:35], v[2:3], v[14:15]
	v_fma_f64 v[34:35], v[0:1], v[12:13], -v[34:35]
	v_mul_f64 v[0:1], v[0:1], v[14:15]
	v_fmac_f64_e32 v[0:1], v[2:3], v[12:13]
	v_add_f64 v[10:11], v[10:11], v[0:1]
	s_waitcnt lgkmcnt(0)
	v_mul_f64 v[0:1], v[6:7], v[32:33]
	v_mul_f64 v[14:15], v[4:5], v[32:33]
	v_fma_f64 v[12:13], v[4:5], v[30:31], -v[0:1]
	v_fmac_f64_e32 v[14:15], v[6:7], v[30:31]
	ds_read_b128 v[0:3], v39 offset:2048
	ds_read_b128 v[4:7], v17 offset:64
	v_add_f64 v[8:9], v[8:9], v[34:35]
	v_add_f64 v[30:31], v[8:9], v[12:13]
	;; [unrolled: 1-line block ×3, first 2 shown]
	ds_read_b128 v[8:11], v39 offset:2560
	ds_read_b128 v[12:15], v17 offset:80
	s_waitcnt lgkmcnt(2)
	v_mul_f64 v[34:35], v[2:3], v[6:7]
	v_fma_f64 v[34:35], v[0:1], v[4:5], -v[34:35]
	v_mul_f64 v[0:1], v[0:1], v[6:7]
	v_fmac_f64_e32 v[0:1], v[2:3], v[4:5]
	v_add_f64 v[32:33], v[32:33], v[0:1]
	s_waitcnt lgkmcnt(0)
	v_mul_f64 v[0:1], v[10:11], v[14:15]
	v_add_f64 v[30:31], v[30:31], v[34:35]
	v_fma_f64 v[34:35], v[8:9], v[12:13], -v[0:1]
	ds_read_b128 v[0:3], v39 offset:3072
	ds_read_b128 v[4:7], v17 offset:96
	v_mul_f64 v[8:9], v[8:9], v[14:15]
	v_fmac_f64_e32 v[8:9], v[10:11], v[12:13]
	v_add_f64 v[32:33], v[32:33], v[8:9]
	ds_read_b128 v[8:11], v39 offset:3584
	ds_read_b128 v[12:15], v17 offset:112
	v_add_f64 v[30:31], v[30:31], v[34:35]
	s_waitcnt lgkmcnt(2)
	v_mul_f64 v[34:35], v[2:3], v[6:7]
	v_fma_f64 v[34:35], v[0:1], v[4:5], -v[34:35]
	v_mul_f64 v[0:1], v[0:1], v[6:7]
	v_fmac_f64_e32 v[0:1], v[2:3], v[4:5]
	v_add_f64 v[32:33], v[32:33], v[0:1]
	s_waitcnt lgkmcnt(0)
	v_mul_f64 v[0:1], v[10:11], v[14:15]
	v_add_f64 v[30:31], v[30:31], v[34:35]
	v_fma_f64 v[34:35], v[8:9], v[12:13], -v[0:1]
	ds_read_b128 v[0:3], v39 offset:4096
	ds_read_b128 v[4:7], v17 offset:128
	v_mul_f64 v[8:9], v[8:9], v[14:15]
	v_fmac_f64_e32 v[8:9], v[10:11], v[12:13]
	v_add_f64 v[32:33], v[32:33], v[8:9]
	ds_read_b128 v[8:11], v39 offset:4608
	ds_read_b128 v[12:15], v17 offset:144
	v_add_f64 v[30:31], v[30:31], v[34:35]
	;; [unrolled: 18-line block ×8, first 2 shown]
	s_waitcnt lgkmcnt(2)
	v_mul_f64 v[34:35], v[2:3], v[6:7]
	v_fma_f64 v[34:35], v[0:1], v[4:5], -v[34:35]
	v_mul_f64 v[0:1], v[0:1], v[6:7]
	v_fmac_f64_e32 v[0:1], v[2:3], v[4:5]
	v_add_f64 v[32:33], v[32:33], v[0:1]
	s_waitcnt lgkmcnt(0)
	v_mul_f64 v[0:1], v[10:11], v[14:15]
	v_add_f64 v[30:31], v[30:31], v[34:35]
	v_fma_f64 v[34:35], v[8:9], v[12:13], -v[0:1]
	v_mul_f64 v[8:9], v[8:9], v[14:15]
	v_fmac_f64_e32 v[8:9], v[10:11], v[12:13]
	ds_read_b128 v[0:3], v39 offset:11264
	ds_read_b128 v[4:7], v17 offset:352
	v_add_f64 v[32:33], v[32:33], v[8:9]
	ds_read_b128 v[8:11], v39 offset:11776
	ds_read_b128 v[12:15], v17 offset:368
	global_load_dwordx4 v[42:45], v[28:29], off
	v_add_f64 v[30:31], v[30:31], v[34:35]
	s_waitcnt lgkmcnt(2)
	v_mul_f64 v[34:35], v[2:3], v[6:7]
	v_fma_f64 v[34:35], v[0:1], v[4:5], -v[34:35]
	v_mul_f64 v[0:1], v[0:1], v[6:7]
	v_fmac_f64_e32 v[0:1], v[2:3], v[4:5]
	v_add_f64 v[32:33], v[32:33], v[0:1]
	s_waitcnt lgkmcnt(0)
	v_mul_f64 v[0:1], v[10:11], v[14:15]
	v_add_f64 v[30:31], v[30:31], v[34:35]
	v_fma_f64 v[34:35], v[8:9], v[12:13], -v[0:1]
	ds_read_b128 v[0:3], v39 offset:12288
	ds_read_b128 v[4:7], v17 offset:384
	v_mul_f64 v[8:9], v[8:9], v[14:15]
	v_fmac_f64_e32 v[8:9], v[10:11], v[12:13]
	v_add_f64 v[32:33], v[32:33], v[8:9]
	ds_read_b128 v[8:11], v39 offset:12800
	ds_read_b128 v[12:15], v17 offset:400
	v_add_f64 v[30:31], v[30:31], v[34:35]
	s_waitcnt lgkmcnt(2)
	v_mul_f64 v[34:35], v[2:3], v[6:7]
	v_fma_f64 v[34:35], v[0:1], v[4:5], -v[34:35]
	v_mul_f64 v[0:1], v[0:1], v[6:7]
	v_fmac_f64_e32 v[0:1], v[2:3], v[4:5]
	v_add_f64 v[32:33], v[32:33], v[0:1]
	s_waitcnt lgkmcnt(0)
	v_mul_f64 v[0:1], v[10:11], v[14:15]
	v_add_f64 v[30:31], v[30:31], v[34:35]
	v_fma_f64 v[34:35], v[8:9], v[12:13], -v[0:1]
	ds_read_b128 v[0:3], v39 offset:13312
	ds_read_b128 v[4:7], v17 offset:416
	v_mul_f64 v[8:9], v[8:9], v[14:15]
	v_fmac_f64_e32 v[8:9], v[10:11], v[12:13]
	v_add_f64 v[32:33], v[32:33], v[8:9]
	ds_read_b128 v[8:11], v39 offset:13824
	ds_read_b128 v[12:15], v17 offset:432
	;; [unrolled: 18-line block ×3, first 2 shown]
	v_add_f64 v[30:31], v[30:31], v[34:35]
	s_waitcnt lgkmcnt(2)
	v_mul_f64 v[34:35], v[2:3], v[6:7]
	v_fma_f64 v[34:35], v[0:1], v[4:5], -v[34:35]
	v_mul_f64 v[0:1], v[0:1], v[6:7]
	v_fmac_f64_e32 v[0:1], v[2:3], v[4:5]
	v_add_f64 v[32:33], v[32:33], v[0:1]
	s_waitcnt lgkmcnt(0)
	v_mul_f64 v[0:1], v[10:11], v[14:15]
	v_add_f64 v[30:31], v[30:31], v[34:35]
	v_fma_f64 v[34:35], v[8:9], v[12:13], -v[0:1]
	v_mul_f64 v[8:9], v[8:9], v[14:15]
	ds_read_b128 v[0:3], v39 offset:15360
	ds_read_b128 v[4:7], v17 offset:480
	v_fmac_f64_e32 v[8:9], v[10:11], v[12:13]
	v_add_f64 v[32:33], v[32:33], v[8:9]
	ds_read_b128 v[8:11], v39 offset:15872
	ds_read_b128 v[12:15], v17 offset:496
	v_add_f64 v[30:31], v[30:31], v[34:35]
	s_waitcnt lgkmcnt(2)
	v_mul_f64 v[34:35], v[2:3], v[6:7]
	v_fma_f64 v[34:35], v[0:1], v[4:5], -v[34:35]
	v_mul_f64 v[0:1], v[0:1], v[6:7]
	v_fmac_f64_e32 v[0:1], v[2:3], v[4:5]
	s_waitcnt lgkmcnt(0)
	v_mul_f64 v[6:7], v[8:9], v[14:15]
	v_add_f64 v[0:1], v[32:33], v[0:1]
	v_mul_f64 v[4:5], v[10:11], v[14:15]
	v_fmac_f64_e32 v[6:7], v[10:11], v[12:13]
	v_add_f64 v[2:3], v[30:31], v[34:35]
	v_fma_f64 v[4:5], v[8:9], v[12:13], -v[4:5]
	v_add_f64 v[0:1], v[0:1], v[6:7]
	v_add_f64 v[2:3], v[2:3], v[4:5]
	v_mul_f64 v[4:5], s[14:15], v[0:1]
	v_fma_f64 v[4:5], s[12:13], v[2:3], -v[4:5]
	v_mul_f64 v[2:3], s[14:15], v[2:3]
	v_fmac_f64_e32 v[2:3], s[12:13], v[0:1]
	s_waitcnt vmcnt(0)
	v_add_f64 v[0:1], v[42:43], v[4:5]
	v_add_f64 v[2:3], v[44:45], v[2:3]
	global_store_dwordx4 v[28:29], v[0:3], off
	s_branch .LBB30_6
.LBB30_21:
	s_endpgm
	.section	.rodata,"a",@progbits
	.p2align	6, 0x0
	.amdhsa_kernel _ZL24rocblas_symm_hemm_kernelILb1ELb0ELi32E19rocblas_complex_numIdEPKS1_PS1_EvbiiT2_T3_lllS6_lllT4_llli
		.amdhsa_group_segment_fixed_size 32768
		.amdhsa_private_segment_fixed_size 0
		.amdhsa_kernarg_size 392
		.amdhsa_user_sgpr_count 2
		.amdhsa_user_sgpr_dispatch_ptr 0
		.amdhsa_user_sgpr_queue_ptr 0
		.amdhsa_user_sgpr_kernarg_segment_ptr 1
		.amdhsa_user_sgpr_dispatch_id 0
		.amdhsa_user_sgpr_kernarg_preload_length 0
		.amdhsa_user_sgpr_kernarg_preload_offset 0
		.amdhsa_user_sgpr_private_segment_size 0
		.amdhsa_uses_dynamic_stack 0
		.amdhsa_enable_private_segment 0
		.amdhsa_system_sgpr_workgroup_id_x 1
		.amdhsa_system_sgpr_workgroup_id_y 1
		.amdhsa_system_sgpr_workgroup_id_z 1
		.amdhsa_system_sgpr_workgroup_info 0
		.amdhsa_system_vgpr_workitem_id 1
		.amdhsa_next_free_vgpr 46
		.amdhsa_next_free_sgpr 48
		.amdhsa_accum_offset 48
		.amdhsa_reserve_vcc 1
		.amdhsa_float_round_mode_32 0
		.amdhsa_float_round_mode_16_64 0
		.amdhsa_float_denorm_mode_32 3
		.amdhsa_float_denorm_mode_16_64 3
		.amdhsa_dx10_clamp 1
		.amdhsa_ieee_mode 1
		.amdhsa_fp16_overflow 0
		.amdhsa_tg_split 0
		.amdhsa_exception_fp_ieee_invalid_op 0
		.amdhsa_exception_fp_denorm_src 0
		.amdhsa_exception_fp_ieee_div_zero 0
		.amdhsa_exception_fp_ieee_overflow 0
		.amdhsa_exception_fp_ieee_underflow 0
		.amdhsa_exception_fp_ieee_inexact 0
		.amdhsa_exception_int_div_zero 0
	.end_amdhsa_kernel
	.section	.text._ZL24rocblas_symm_hemm_kernelILb1ELb0ELi32E19rocblas_complex_numIdEPKS1_PS1_EvbiiT2_T3_lllS6_lllT4_llli,"axG",@progbits,_ZL24rocblas_symm_hemm_kernelILb1ELb0ELi32E19rocblas_complex_numIdEPKS1_PS1_EvbiiT2_T3_lllS6_lllT4_llli,comdat
.Lfunc_end30:
	.size	_ZL24rocblas_symm_hemm_kernelILb1ELb0ELi32E19rocblas_complex_numIdEPKS1_PS1_EvbiiT2_T3_lllS6_lllT4_llli, .Lfunc_end30-_ZL24rocblas_symm_hemm_kernelILb1ELb0ELi32E19rocblas_complex_numIdEPKS1_PS1_EvbiiT2_T3_lllS6_lllT4_llli
                                        ; -- End function
	.set _ZL24rocblas_symm_hemm_kernelILb1ELb0ELi32E19rocblas_complex_numIdEPKS1_PS1_EvbiiT2_T3_lllS6_lllT4_llli.num_vgpr, 46
	.set _ZL24rocblas_symm_hemm_kernelILb1ELb0ELi32E19rocblas_complex_numIdEPKS1_PS1_EvbiiT2_T3_lllS6_lllT4_llli.num_agpr, 0
	.set _ZL24rocblas_symm_hemm_kernelILb1ELb0ELi32E19rocblas_complex_numIdEPKS1_PS1_EvbiiT2_T3_lllS6_lllT4_llli.numbered_sgpr, 48
	.set _ZL24rocblas_symm_hemm_kernelILb1ELb0ELi32E19rocblas_complex_numIdEPKS1_PS1_EvbiiT2_T3_lllS6_lllT4_llli.num_named_barrier, 0
	.set _ZL24rocblas_symm_hemm_kernelILb1ELb0ELi32E19rocblas_complex_numIdEPKS1_PS1_EvbiiT2_T3_lllS6_lllT4_llli.private_seg_size, 0
	.set _ZL24rocblas_symm_hemm_kernelILb1ELb0ELi32E19rocblas_complex_numIdEPKS1_PS1_EvbiiT2_T3_lllS6_lllT4_llli.uses_vcc, 1
	.set _ZL24rocblas_symm_hemm_kernelILb1ELb0ELi32E19rocblas_complex_numIdEPKS1_PS1_EvbiiT2_T3_lllS6_lllT4_llli.uses_flat_scratch, 0
	.set _ZL24rocblas_symm_hemm_kernelILb1ELb0ELi32E19rocblas_complex_numIdEPKS1_PS1_EvbiiT2_T3_lllS6_lllT4_llli.has_dyn_sized_stack, 0
	.set _ZL24rocblas_symm_hemm_kernelILb1ELb0ELi32E19rocblas_complex_numIdEPKS1_PS1_EvbiiT2_T3_lllS6_lllT4_llli.has_recursion, 0
	.set _ZL24rocblas_symm_hemm_kernelILb1ELb0ELi32E19rocblas_complex_numIdEPKS1_PS1_EvbiiT2_T3_lllS6_lllT4_llli.has_indirect_call, 0
	.section	.AMDGPU.csdata,"",@progbits
; Kernel info:
; codeLenInByte = 3016
; TotalNumSgprs: 54
; NumVgprs: 46
; NumAgprs: 0
; TotalNumVgprs: 46
; ScratchSize: 0
; MemoryBound: 1
; FloatMode: 240
; IeeeMode: 1
; LDSByteSize: 32768 bytes/workgroup (compile time only)
; SGPRBlocks: 6
; VGPRBlocks: 5
; NumSGPRsForWavesPerEU: 54
; NumVGPRsForWavesPerEU: 46
; AccumOffset: 48
; Occupancy: 8
; WaveLimiterHint : 0
; COMPUTE_PGM_RSRC2:SCRATCH_EN: 0
; COMPUTE_PGM_RSRC2:USER_SGPR: 2
; COMPUTE_PGM_RSRC2:TRAP_HANDLER: 0
; COMPUTE_PGM_RSRC2:TGID_X_EN: 1
; COMPUTE_PGM_RSRC2:TGID_Y_EN: 1
; COMPUTE_PGM_RSRC2:TGID_Z_EN: 1
; COMPUTE_PGM_RSRC2:TIDIG_COMP_CNT: 1
; COMPUTE_PGM_RSRC3_GFX90A:ACCUM_OFFSET: 11
; COMPUTE_PGM_RSRC3_GFX90A:TG_SPLIT: 0
	.section	.text._ZL24rocblas_symm_hemm_kernelILb1ELb1ELi32E19rocblas_complex_numIdEPKS1_PS1_EvbiiT2_T3_lllS6_lllT4_llli,"axG",@progbits,_ZL24rocblas_symm_hemm_kernelILb1ELb1ELi32E19rocblas_complex_numIdEPKS1_PS1_EvbiiT2_T3_lllS6_lllT4_llli,comdat
	.globl	_ZL24rocblas_symm_hemm_kernelILb1ELb1ELi32E19rocblas_complex_numIdEPKS1_PS1_EvbiiT2_T3_lllS6_lllT4_llli ; -- Begin function _ZL24rocblas_symm_hemm_kernelILb1ELb1ELi32E19rocblas_complex_numIdEPKS1_PS1_EvbiiT2_T3_lllS6_lllT4_llli
	.p2align	8
	.type	_ZL24rocblas_symm_hemm_kernelILb1ELb1ELi32E19rocblas_complex_numIdEPKS1_PS1_EvbiiT2_T3_lllS6_lllT4_llli,@function
_ZL24rocblas_symm_hemm_kernelILb1ELb1ELi32E19rocblas_complex_numIdEPKS1_PS1_EvbiiT2_T3_lllS6_lllT4_llli: ; @_ZL24rocblas_symm_hemm_kernelILb1ELb1ELi32E19rocblas_complex_numIdEPKS1_PS1_EvbiiT2_T3_lllS6_lllT4_llli
; %bb.0:
	s_load_dwordx16 s[12:27], s[0:1], 0x10
	s_waitcnt lgkmcnt(0)
	v_cmp_eq_f64_e64 s[6:7], s[12:13], 0
	v_cmp_eq_f64_e64 s[8:9], s[14:15], 0
	s_and_b64 s[6:7], s[6:7], s[8:9]
	s_and_b64 vcc, exec, s[6:7]
	s_cbranch_vccnz .LBB31_21
; %bb.1:
	s_load_dwordx4 s[8:11], s[0:1], 0x0
	s_waitcnt lgkmcnt(0)
	s_add_i32 s5, s10, -1
	s_ashr_i32 s6, s5, 31
	s_lshr_b32 s6, s6, 27
	s_add_i32 s5, s5, s6
	s_ashr_i32 s11, s5, 5
	s_cmp_gt_i32 s3, s11
	s_cbranch_scc1 .LBB31_21
; %bb.2:
	s_mul_i32 s5, s23, s4
	s_mul_hi_u32 s6, s22, s4
	s_add_i32 s7, s6, s5
	s_mul_i32 s6, s22, s4
	s_lshl_b64 s[6:7], s[6:7], 4
	s_add_u32 s5, s16, s6
	s_addc_u32 s16, s17, s7
	s_lshl_b64 s[6:7], s[18:19], 4
	s_add_u32 s22, s5, s6
	s_addc_u32 s23, s16, s7
	s_load_dwordx4 s[16:19], s[0:1], 0x70
	s_load_dwordx8 s[36:43], s[0:1], 0x50
	s_load_dword s28, s[0:1], 0x8c
	s_bitcmp1_b32 s8, 0
	s_cselect_b64 s[6:7], -1, 0
	v_and_b32_e32 v36, 0x3ff, v0
	s_waitcnt lgkmcnt(0)
	s_mul_i32 s0, s19, s4
	s_mul_hi_u32 s1, s18, s4
	s_add_i32 s1, s1, s0
	s_mul_i32 s0, s18, s4
	s_lshl_b64 s[0:1], s[0:1], 4
	s_add_u32 s5, s40, s0
	s_addc_u32 s8, s41, s1
	s_lshl_b64 s[0:1], s[42:43], 4
	s_add_u32 s18, s5, s0
	s_addc_u32 s19, s8, s1
	s_mul_i32 s0, s39, s4
	s_mul_hi_u32 s1, s38, s4
	s_add_i32 s1, s1, s0
	s_mul_i32 s0, s38, s4
	s_lshl_b64 s[0:1], s[0:1], 4
	s_add_u32 s4, s24, s0
	s_addc_u32 s5, s25, s1
	s_lshl_b64 s[0:1], s[26:27], 4
	s_add_u32 s4, s4, s0
	v_lshl_add_u32 v2, s2, 5, v36
	s_addc_u32 s5, s5, s1
	v_ashrrev_i32_e32 v3, 31, v2
	v_bfe_u32 v37, v0, 10, 10
	s_cmp_gt_i32 s10, 0
	v_lshlrev_b64 v[0:1], 4, v[2:3]
	s_cselect_b64 s[24:25], -1, 0
	v_cmp_gt_i32_e64 s[0:1], s9, v2
	v_lshl_add_u64 v[16:17], s[4:5], 0, v[0:1]
	v_lshlrev_b32_e32 v2, 4, v37
	v_lshl_add_u64 v[18:19], s[18:19], 0, v[0:1]
	v_lshl_add_u32 v0, s3, 5, v37
	v_lshlrev_b32_e32 v38, 9, v36
	v_or_b32_e32 v40, 0x4000, v2
	v_sub_u32_e32 v42, 0, v0
	v_cndmask_b32_e64 v0, 0, 1, s[24:25]
	v_add_u32_e32 v39, v38, v2
	v_add_u32_e32 v41, v40, v38
	s_lshl_b32 s2, s28, 5
	v_cmp_ne_u32_e64 s[4:5], 1, v0
	s_branch .LBB31_4
.LBB31_3:                               ;   in Loop: Header=BB31_4 Depth=1
	s_add_i32 s3, s3, s28
	s_cmp_gt_i32 s3, s11
	v_subrev_u32_e32 v42, s2, v42
	s_cbranch_scc1 .LBB31_21
.LBB31_4:                               ; =>This Loop Header: Depth=1
                                        ;     Child Loop BB31_7 Depth 2
	s_and_b64 vcc, exec, s[4:5]
	s_cbranch_vccnz .LBB31_3
; %bb.5:                                ;   in Loop: Header=BB31_4 Depth=1
	v_lshl_add_u32 v20, s3, 5, v37
	v_ashrrev_i32_e32 v21, 31, v20
	v_mul_lo_u32 v2, s20, v21
	v_mul_lo_u32 v3, s21, v20
	v_mad_u64_u32 v[0:1], s[8:9], s20, v20, 0
	v_add3_u32 v1, v1, v2, v3
	v_mul_lo_u32 v4, s16, v21
	v_mul_lo_u32 v5, s17, v20
	v_mad_u64_u32 v[2:3], s[8:9], s16, v20, 0
	v_lshl_add_u64 v[22:23], v[0:1], 4, s[22:23]
	v_lshlrev_b64 v[0:1], 4, v[20:21]
	v_cmp_gt_i32_e32 vcc, s10, v20
	v_add3_u32 v3, v3, v4, v5
	v_lshl_add_u64 v[24:25], s[22:23], 0, v[0:1]
	s_and_b64 s[18:19], s[0:1], vcc
	v_lshl_add_u64 v[26:27], v[2:3], 4, v[18:19]
	v_lshl_add_u64 v[28:29], v[22:23], 0, v[0:1]
	v_add_u32_e32 v21, v36, v42
	s_mov_b32 s29, 0
	s_branch .LBB31_7
.LBB31_6:                               ;   in Loop: Header=BB31_7 Depth=2
	s_or_b64 exec, exec, s[8:9]
	s_add_i32 s29, s29, 32
	s_cmp_ge_i32 s29, s10
	s_barrier
	s_cbranch_scc1 .LBB31_3
.LBB31_7:                               ;   Parent Loop BB31_4 Depth=1
                                        ; =>  This Inner Loop Header: Depth=2
	v_add_u32_e32 v6, s29, v37
	v_cmp_gt_i32_e32 vcc, s10, v6
	s_and_b64 s[24:25], s[0:1], vcc
	v_mov_b64_e32 v[0:1], 0
	v_mov_b64_e32 v[2:3], 0
	;; [unrolled: 1-line block ×3, first 2 shown]
	s_and_saveexec_b64 s[8:9], s[24:25]
	s_cbranch_execz .LBB31_9
; %bb.8:                                ;   in Loop: Header=BB31_7 Depth=2
	v_ashrrev_i32_e32 v2, 31, v6
	v_mul_lo_u32 v4, s37, v6
	v_mul_lo_u32 v5, s36, v2
	v_mad_u64_u32 v[2:3], s[24:25], s36, v6, 0
	v_add3_u32 v3, v3, v5, v4
	v_lshl_add_u64 v[2:3], v[2:3], 4, v[16:17]
	global_load_dwordx4 v[2:5], v[2:3], off
.LBB31_9:                               ;   in Loop: Header=BB31_7 Depth=2
	s_or_b64 exec, exec, s[8:9]
	s_waitcnt vmcnt(0)
	ds_write_b128 v39, v[2:5]
	v_add_u32_e32 v4, s29, v36
	v_cndmask_b32_e64 v2, v20, v4, s[6:7]
	v_cndmask_b32_e64 v3, v4, v20, s[6:7]
	v_cmp_gt_i32_e64 s[8:9], v2, v3
	v_cmp_le_i32_e32 vcc, v2, v3
	s_nop 0
	v_cndmask_b32_e64 v2, v4, v20, s[8:9]
	v_cndmask_b32_e64 v3, v20, v4, s[8:9]
	v_max_i32_e32 v2, v2, v3
	v_cmp_gt_i32_e64 s[8:9], s10, v2
	v_mov_b64_e32 v[2:3], 0
	s_and_saveexec_b64 s[24:25], s[8:9]
	s_cbranch_execz .LBB31_19
; %bb.10:                               ;   in Loop: Header=BB31_7 Depth=2
                                        ; implicit-def: $vgpr2_vgpr3
	s_and_saveexec_b64 s[8:9], vcc
	s_xor_b64 s[8:9], exec, s[8:9]
	s_cbranch_execz .LBB31_16
; %bb.11:                               ;   in Loop: Header=BB31_7 Depth=2
	v_add_u32_e32 v0, s29, v21
	v_cmp_ne_u32_e32 vcc, 0, v0
                                        ; implicit-def: $vgpr2_vgpr3
	s_and_saveexec_b64 s[26:27], vcc
	s_xor_b64 s[26:27], exec, s[26:27]
	s_cbranch_execz .LBB31_13
; %bb.12:                               ;   in Loop: Header=BB31_7 Depth=2
	v_ashrrev_i32_e32 v5, 31, v4
	v_lshl_add_u64 v[0:1], v[4:5], 4, v[22:23]
	global_load_dwordx4 v[0:3], v[0:1], off
.LBB31_13:                              ;   in Loop: Header=BB31_7 Depth=2
	s_andn2_saveexec_b64 s[26:27], s[26:27]
	s_cbranch_execz .LBB31_15
; %bb.14:                               ;   in Loop: Header=BB31_7 Depth=2
	global_load_dwordx2 v[0:1], v[28:29], off
	s_waitcnt vmcnt(1)
	v_mov_b64_e32 v[2:3], 0
.LBB31_15:                              ;   in Loop: Header=BB31_7 Depth=2
	s_or_b64 exec, exec, s[26:27]
                                        ; implicit-def: $vgpr4
.LBB31_16:                              ;   in Loop: Header=BB31_7 Depth=2
	s_andn2_saveexec_b64 s[8:9], s[8:9]
	s_cbranch_execz .LBB31_18
; %bb.17:                               ;   in Loop: Header=BB31_7 Depth=2
	s_waitcnt vmcnt(0)
	v_ashrrev_i32_e32 v0, 31, v4
	v_mul_lo_u32 v2, s21, v4
	v_mul_lo_u32 v3, s20, v0
	v_mad_u64_u32 v[0:1], s[26:27], s20, v4, 0
	v_add3_u32 v1, v1, v3, v2
	v_lshl_add_u64 v[0:1], v[0:1], 4, v[24:25]
	global_load_dwordx4 v[0:3], v[0:1], off
	s_waitcnt vmcnt(0)
	v_xor_b32_e32 v3, 0x80000000, v3
.LBB31_18:                              ;   in Loop: Header=BB31_7 Depth=2
	s_or_b64 exec, exec, s[8:9]
.LBB31_19:                              ;   in Loop: Header=BB31_7 Depth=2
	s_or_b64 exec, exec, s[24:25]
	s_waitcnt vmcnt(0)
	ds_write_b128 v41, v[0:3]
	s_waitcnt lgkmcnt(0)
	s_barrier
	s_and_saveexec_b64 s[8:9], s[18:19]
	s_cbranch_execz .LBB31_6
; %bb.20:                               ;   in Loop: Header=BB31_7 Depth=2
	ds_read_b128 v[0:3], v40
	ds_read_b128 v[4:7], v38
	ds_read_b128 v[8:11], v38 offset:16
	ds_read_b128 v[12:15], v38 offset:32
	;; [unrolled: 1-line block ×4, first 2 shown]
	s_waitcnt lgkmcnt(4)
	v_mul_f64 v[34:35], v[2:3], v[6:7]
	v_fma_f64 v[34:35], v[0:1], v[4:5], -v[34:35]
	v_mul_f64 v[0:1], v[0:1], v[6:7]
	v_fmac_f64_e32 v[0:1], v[2:3], v[4:5]
	v_add_f64 v[6:7], v[0:1], 0
	s_waitcnt lgkmcnt(0)
	v_mul_f64 v[0:1], v[46:47], v[10:11]
	v_add_f64 v[4:5], v[34:35], 0
	v_fma_f64 v[34:35], v[44:45], v[8:9], -v[0:1]
	ds_read_b128 v[0:3], v40 offset:1024
	v_mul_f64 v[10:11], v[44:45], v[10:11]
	v_fmac_f64_e32 v[10:11], v[46:47], v[8:9]
	v_add_f64 v[8:9], v[4:5], v[34:35]
	v_add_f64 v[10:11], v[6:7], v[10:11]
	ds_read_b128 v[4:7], v40 offset:1536
	s_waitcnt lgkmcnt(1)
	v_mul_f64 v[34:35], v[2:3], v[14:15]
	v_fma_f64 v[34:35], v[0:1], v[12:13], -v[34:35]
	v_mul_f64 v[0:1], v[0:1], v[14:15]
	v_fmac_f64_e32 v[0:1], v[2:3], v[12:13]
	v_add_f64 v[10:11], v[10:11], v[0:1]
	s_waitcnt lgkmcnt(0)
	v_mul_f64 v[0:1], v[6:7], v[32:33]
	v_mul_f64 v[14:15], v[4:5], v[32:33]
	v_fma_f64 v[12:13], v[4:5], v[30:31], -v[0:1]
	v_fmac_f64_e32 v[14:15], v[6:7], v[30:31]
	ds_read_b128 v[0:3], v40 offset:2048
	ds_read_b128 v[4:7], v38 offset:64
	v_add_f64 v[8:9], v[8:9], v[34:35]
	v_add_f64 v[30:31], v[8:9], v[12:13]
	;; [unrolled: 1-line block ×3, first 2 shown]
	ds_read_b128 v[8:11], v40 offset:2560
	ds_read_b128 v[12:15], v38 offset:80
	s_waitcnt lgkmcnt(2)
	v_mul_f64 v[34:35], v[2:3], v[6:7]
	v_fma_f64 v[34:35], v[0:1], v[4:5], -v[34:35]
	v_mul_f64 v[0:1], v[0:1], v[6:7]
	v_fmac_f64_e32 v[0:1], v[2:3], v[4:5]
	v_add_f64 v[32:33], v[32:33], v[0:1]
	s_waitcnt lgkmcnt(0)
	v_mul_f64 v[0:1], v[10:11], v[14:15]
	v_add_f64 v[30:31], v[30:31], v[34:35]
	v_fma_f64 v[34:35], v[8:9], v[12:13], -v[0:1]
	ds_read_b128 v[0:3], v40 offset:3072
	ds_read_b128 v[4:7], v38 offset:96
	v_mul_f64 v[8:9], v[8:9], v[14:15]
	v_fmac_f64_e32 v[8:9], v[10:11], v[12:13]
	v_add_f64 v[32:33], v[32:33], v[8:9]
	ds_read_b128 v[8:11], v40 offset:3584
	ds_read_b128 v[12:15], v38 offset:112
	v_add_f64 v[30:31], v[30:31], v[34:35]
	s_waitcnt lgkmcnt(2)
	v_mul_f64 v[34:35], v[2:3], v[6:7]
	v_fma_f64 v[34:35], v[0:1], v[4:5], -v[34:35]
	v_mul_f64 v[0:1], v[0:1], v[6:7]
	v_fmac_f64_e32 v[0:1], v[2:3], v[4:5]
	v_add_f64 v[32:33], v[32:33], v[0:1]
	s_waitcnt lgkmcnt(0)
	v_mul_f64 v[0:1], v[10:11], v[14:15]
	v_add_f64 v[30:31], v[30:31], v[34:35]
	v_fma_f64 v[34:35], v[8:9], v[12:13], -v[0:1]
	ds_read_b128 v[0:3], v40 offset:4096
	ds_read_b128 v[4:7], v38 offset:128
	v_mul_f64 v[8:9], v[8:9], v[14:15]
	v_fmac_f64_e32 v[8:9], v[10:11], v[12:13]
	v_add_f64 v[32:33], v[32:33], v[8:9]
	ds_read_b128 v[8:11], v40 offset:4608
	ds_read_b128 v[12:15], v38 offset:144
	v_add_f64 v[30:31], v[30:31], v[34:35]
	;; [unrolled: 18-line block ×8, first 2 shown]
	s_waitcnt lgkmcnt(2)
	v_mul_f64 v[34:35], v[2:3], v[6:7]
	v_fma_f64 v[34:35], v[0:1], v[4:5], -v[34:35]
	v_mul_f64 v[0:1], v[0:1], v[6:7]
	v_fmac_f64_e32 v[0:1], v[2:3], v[4:5]
	v_add_f64 v[32:33], v[32:33], v[0:1]
	s_waitcnt lgkmcnt(0)
	v_mul_f64 v[0:1], v[10:11], v[14:15]
	v_add_f64 v[30:31], v[30:31], v[34:35]
	v_fma_f64 v[34:35], v[8:9], v[12:13], -v[0:1]
	v_mul_f64 v[8:9], v[8:9], v[14:15]
	v_fmac_f64_e32 v[8:9], v[10:11], v[12:13]
	ds_read_b128 v[0:3], v40 offset:11264
	ds_read_b128 v[4:7], v38 offset:352
	v_add_f64 v[32:33], v[32:33], v[8:9]
	ds_read_b128 v[8:11], v40 offset:11776
	ds_read_b128 v[12:15], v38 offset:368
	global_load_dwordx4 v[44:47], v[26:27], off
	v_add_f64 v[30:31], v[30:31], v[34:35]
	s_waitcnt lgkmcnt(2)
	v_mul_f64 v[34:35], v[2:3], v[6:7]
	v_fma_f64 v[34:35], v[0:1], v[4:5], -v[34:35]
	v_mul_f64 v[0:1], v[0:1], v[6:7]
	v_fmac_f64_e32 v[0:1], v[2:3], v[4:5]
	v_add_f64 v[32:33], v[32:33], v[0:1]
	s_waitcnt lgkmcnt(0)
	v_mul_f64 v[0:1], v[10:11], v[14:15]
	v_add_f64 v[30:31], v[30:31], v[34:35]
	v_fma_f64 v[34:35], v[8:9], v[12:13], -v[0:1]
	ds_read_b128 v[0:3], v40 offset:12288
	ds_read_b128 v[4:7], v38 offset:384
	v_mul_f64 v[8:9], v[8:9], v[14:15]
	v_fmac_f64_e32 v[8:9], v[10:11], v[12:13]
	v_add_f64 v[32:33], v[32:33], v[8:9]
	ds_read_b128 v[8:11], v40 offset:12800
	ds_read_b128 v[12:15], v38 offset:400
	v_add_f64 v[30:31], v[30:31], v[34:35]
	s_waitcnt lgkmcnt(2)
	v_mul_f64 v[34:35], v[2:3], v[6:7]
	v_fma_f64 v[34:35], v[0:1], v[4:5], -v[34:35]
	v_mul_f64 v[0:1], v[0:1], v[6:7]
	v_fmac_f64_e32 v[0:1], v[2:3], v[4:5]
	v_add_f64 v[32:33], v[32:33], v[0:1]
	s_waitcnt lgkmcnt(0)
	v_mul_f64 v[0:1], v[10:11], v[14:15]
	v_add_f64 v[30:31], v[30:31], v[34:35]
	v_fma_f64 v[34:35], v[8:9], v[12:13], -v[0:1]
	ds_read_b128 v[0:3], v40 offset:13312
	ds_read_b128 v[4:7], v38 offset:416
	v_mul_f64 v[8:9], v[8:9], v[14:15]
	v_fmac_f64_e32 v[8:9], v[10:11], v[12:13]
	v_add_f64 v[32:33], v[32:33], v[8:9]
	ds_read_b128 v[8:11], v40 offset:13824
	ds_read_b128 v[12:15], v38 offset:432
	;; [unrolled: 18-line block ×3, first 2 shown]
	v_add_f64 v[30:31], v[30:31], v[34:35]
	s_waitcnt lgkmcnt(2)
	v_mul_f64 v[34:35], v[2:3], v[6:7]
	v_fma_f64 v[34:35], v[0:1], v[4:5], -v[34:35]
	v_mul_f64 v[0:1], v[0:1], v[6:7]
	v_fmac_f64_e32 v[0:1], v[2:3], v[4:5]
	v_add_f64 v[32:33], v[32:33], v[0:1]
	s_waitcnt lgkmcnt(0)
	v_mul_f64 v[0:1], v[10:11], v[14:15]
	v_add_f64 v[30:31], v[30:31], v[34:35]
	v_fma_f64 v[34:35], v[8:9], v[12:13], -v[0:1]
	v_mul_f64 v[8:9], v[8:9], v[14:15]
	ds_read_b128 v[0:3], v40 offset:15360
	ds_read_b128 v[4:7], v38 offset:480
	v_fmac_f64_e32 v[8:9], v[10:11], v[12:13]
	v_add_f64 v[32:33], v[32:33], v[8:9]
	ds_read_b128 v[8:11], v40 offset:15872
	ds_read_b128 v[12:15], v38 offset:496
	v_add_f64 v[30:31], v[30:31], v[34:35]
	s_waitcnt lgkmcnt(2)
	v_mul_f64 v[34:35], v[2:3], v[6:7]
	v_fma_f64 v[34:35], v[0:1], v[4:5], -v[34:35]
	v_mul_f64 v[0:1], v[0:1], v[6:7]
	v_fmac_f64_e32 v[0:1], v[2:3], v[4:5]
	s_waitcnt lgkmcnt(0)
	v_mul_f64 v[6:7], v[8:9], v[14:15]
	v_add_f64 v[0:1], v[32:33], v[0:1]
	v_mul_f64 v[4:5], v[10:11], v[14:15]
	v_fmac_f64_e32 v[6:7], v[10:11], v[12:13]
	v_add_f64 v[2:3], v[30:31], v[34:35]
	v_fma_f64 v[4:5], v[8:9], v[12:13], -v[4:5]
	v_add_f64 v[0:1], v[0:1], v[6:7]
	v_add_f64 v[2:3], v[2:3], v[4:5]
	v_mul_f64 v[4:5], s[14:15], v[0:1]
	v_fma_f64 v[4:5], s[12:13], v[2:3], -v[4:5]
	v_mul_f64 v[2:3], s[14:15], v[2:3]
	v_fmac_f64_e32 v[2:3], s[12:13], v[0:1]
	s_waitcnt vmcnt(0)
	v_add_f64 v[0:1], v[44:45], v[4:5]
	v_add_f64 v[2:3], v[46:47], v[2:3]
	global_store_dwordx4 v[26:27], v[0:3], off
	s_branch .LBB31_6
.LBB31_21:
	s_endpgm
	.section	.rodata,"a",@progbits
	.p2align	6, 0x0
	.amdhsa_kernel _ZL24rocblas_symm_hemm_kernelILb1ELb1ELi32E19rocblas_complex_numIdEPKS1_PS1_EvbiiT2_T3_lllS6_lllT4_llli
		.amdhsa_group_segment_fixed_size 32768
		.amdhsa_private_segment_fixed_size 0
		.amdhsa_kernarg_size 392
		.amdhsa_user_sgpr_count 2
		.amdhsa_user_sgpr_dispatch_ptr 0
		.amdhsa_user_sgpr_queue_ptr 0
		.amdhsa_user_sgpr_kernarg_segment_ptr 1
		.amdhsa_user_sgpr_dispatch_id 0
		.amdhsa_user_sgpr_kernarg_preload_length 0
		.amdhsa_user_sgpr_kernarg_preload_offset 0
		.amdhsa_user_sgpr_private_segment_size 0
		.amdhsa_uses_dynamic_stack 0
		.amdhsa_enable_private_segment 0
		.amdhsa_system_sgpr_workgroup_id_x 1
		.amdhsa_system_sgpr_workgroup_id_y 1
		.amdhsa_system_sgpr_workgroup_id_z 1
		.amdhsa_system_sgpr_workgroup_info 0
		.amdhsa_system_vgpr_workitem_id 1
		.amdhsa_next_free_vgpr 48
		.amdhsa_next_free_sgpr 44
		.amdhsa_accum_offset 48
		.amdhsa_reserve_vcc 1
		.amdhsa_float_round_mode_32 0
		.amdhsa_float_round_mode_16_64 0
		.amdhsa_float_denorm_mode_32 3
		.amdhsa_float_denorm_mode_16_64 3
		.amdhsa_dx10_clamp 1
		.amdhsa_ieee_mode 1
		.amdhsa_fp16_overflow 0
		.amdhsa_tg_split 0
		.amdhsa_exception_fp_ieee_invalid_op 0
		.amdhsa_exception_fp_denorm_src 0
		.amdhsa_exception_fp_ieee_div_zero 0
		.amdhsa_exception_fp_ieee_overflow 0
		.amdhsa_exception_fp_ieee_underflow 0
		.amdhsa_exception_fp_ieee_inexact 0
		.amdhsa_exception_int_div_zero 0
	.end_amdhsa_kernel
	.section	.text._ZL24rocblas_symm_hemm_kernelILb1ELb1ELi32E19rocblas_complex_numIdEPKS1_PS1_EvbiiT2_T3_lllS6_lllT4_llli,"axG",@progbits,_ZL24rocblas_symm_hemm_kernelILb1ELb1ELi32E19rocblas_complex_numIdEPKS1_PS1_EvbiiT2_T3_lllS6_lllT4_llli,comdat
.Lfunc_end31:
	.size	_ZL24rocblas_symm_hemm_kernelILb1ELb1ELi32E19rocblas_complex_numIdEPKS1_PS1_EvbiiT2_T3_lllS6_lllT4_llli, .Lfunc_end31-_ZL24rocblas_symm_hemm_kernelILb1ELb1ELi32E19rocblas_complex_numIdEPKS1_PS1_EvbiiT2_T3_lllS6_lllT4_llli
                                        ; -- End function
	.set _ZL24rocblas_symm_hemm_kernelILb1ELb1ELi32E19rocblas_complex_numIdEPKS1_PS1_EvbiiT2_T3_lllS6_lllT4_llli.num_vgpr, 48
	.set _ZL24rocblas_symm_hemm_kernelILb1ELb1ELi32E19rocblas_complex_numIdEPKS1_PS1_EvbiiT2_T3_lllS6_lllT4_llli.num_agpr, 0
	.set _ZL24rocblas_symm_hemm_kernelILb1ELb1ELi32E19rocblas_complex_numIdEPKS1_PS1_EvbiiT2_T3_lllS6_lllT4_llli.numbered_sgpr, 44
	.set _ZL24rocblas_symm_hemm_kernelILb1ELb1ELi32E19rocblas_complex_numIdEPKS1_PS1_EvbiiT2_T3_lllS6_lllT4_llli.num_named_barrier, 0
	.set _ZL24rocblas_symm_hemm_kernelILb1ELb1ELi32E19rocblas_complex_numIdEPKS1_PS1_EvbiiT2_T3_lllS6_lllT4_llli.private_seg_size, 0
	.set _ZL24rocblas_symm_hemm_kernelILb1ELb1ELi32E19rocblas_complex_numIdEPKS1_PS1_EvbiiT2_T3_lllS6_lllT4_llli.uses_vcc, 1
	.set _ZL24rocblas_symm_hemm_kernelILb1ELb1ELi32E19rocblas_complex_numIdEPKS1_PS1_EvbiiT2_T3_lllS6_lllT4_llli.uses_flat_scratch, 0
	.set _ZL24rocblas_symm_hemm_kernelILb1ELb1ELi32E19rocblas_complex_numIdEPKS1_PS1_EvbiiT2_T3_lllS6_lllT4_llli.has_dyn_sized_stack, 0
	.set _ZL24rocblas_symm_hemm_kernelILb1ELb1ELi32E19rocblas_complex_numIdEPKS1_PS1_EvbiiT2_T3_lllS6_lllT4_llli.has_recursion, 0
	.set _ZL24rocblas_symm_hemm_kernelILb1ELb1ELi32E19rocblas_complex_numIdEPKS1_PS1_EvbiiT2_T3_lllS6_lllT4_llli.has_indirect_call, 0
	.section	.AMDGPU.csdata,"",@progbits
; Kernel info:
; codeLenInByte = 3032
; TotalNumSgprs: 50
; NumVgprs: 48
; NumAgprs: 0
; TotalNumVgprs: 48
; ScratchSize: 0
; MemoryBound: 1
; FloatMode: 240
; IeeeMode: 1
; LDSByteSize: 32768 bytes/workgroup (compile time only)
; SGPRBlocks: 6
; VGPRBlocks: 5
; NumSGPRsForWavesPerEU: 50
; NumVGPRsForWavesPerEU: 48
; AccumOffset: 48
; Occupancy: 8
; WaveLimiterHint : 0
; COMPUTE_PGM_RSRC2:SCRATCH_EN: 0
; COMPUTE_PGM_RSRC2:USER_SGPR: 2
; COMPUTE_PGM_RSRC2:TRAP_HANDLER: 0
; COMPUTE_PGM_RSRC2:TGID_X_EN: 1
; COMPUTE_PGM_RSRC2:TGID_Y_EN: 1
; COMPUTE_PGM_RSRC2:TGID_Z_EN: 1
; COMPUTE_PGM_RSRC2:TIDIG_COMP_CNT: 1
; COMPUTE_PGM_RSRC3_GFX90A:ACCUM_OFFSET: 11
; COMPUTE_PGM_RSRC3_GFX90A:TG_SPLIT: 0
	.section	.text._ZL25rocblas_symm_scale_kernelILi128ELi8EPKfPKPfEviiT1_T2_llli,"axG",@progbits,_ZL25rocblas_symm_scale_kernelILi128ELi8EPKfPKPfEviiT1_T2_llli,comdat
	.globl	_ZL25rocblas_symm_scale_kernelILi128ELi8EPKfPKPfEviiT1_T2_llli ; -- Begin function _ZL25rocblas_symm_scale_kernelILi128ELi8EPKfPKPfEviiT1_T2_llli
	.p2align	8
	.type	_ZL25rocblas_symm_scale_kernelILi128ELi8EPKfPKPfEviiT1_T2_llli,@function
_ZL25rocblas_symm_scale_kernelILi128ELi8EPKfPKPfEviiT1_T2_llli: ; @_ZL25rocblas_symm_scale_kernelILi128ELi8EPKfPKPfEviiT1_T2_llli
; %bb.0:
	s_load_dwordx8 s[8:15], s[0:1], 0x8
	s_waitcnt lgkmcnt(0)
	s_load_dword s16, s[8:9], 0x0
	s_waitcnt lgkmcnt(0)
	v_cmp_eq_f32_e64 s[6:7], s16, 1.0
	s_and_b64 vcc, exec, s[6:7]
	s_cbranch_vccnz .LBB32_7
; %bb.1:
	s_load_dwordx2 s[8:9], s[0:1], 0x0
	v_and_b32_e32 v1, 0x3ff, v0
	v_bfe_u32 v0, v0, 10, 10
	v_lshl_add_u32 v2, s2, 7, v1
	v_lshl_add_u32 v0, s3, 3, v0
	v_mov_b32_e32 v1, 0
	s_waitcnt lgkmcnt(0)
	s_ashr_i32 s7, s9, 31
	s_mov_b32 s6, s9
	v_cmp_gt_u32_e32 vcc, s8, v2
	v_cmp_gt_i64_e64 s[2:3], s[6:7], v[0:1]
	s_and_b64 s[2:3], vcc, s[2:3]
	s_and_saveexec_b64 s[8:9], s[2:3]
	s_cbranch_execz .LBB32_7
; %bb.2:
	s_mov_b32 s5, 0
	s_lshl_b64 s[2:3], s[4:5], 3
	s_load_dword s4, s[0:1], 0x3c
	s_add_u32 s0, s10, s2
	s_addc_u32 s1, s11, s3
	v_mad_u64_u32 v[4:5], s[2:3], s14, v0, 0
	s_load_dwordx2 s[0:1], s[0:1], 0x0
	v_mov_b32_e32 v6, v5
	v_mad_u64_u32 v[6:7], s[2:3], s15, v0, v[6:7]
	v_mov_b32_e32 v5, v6
	s_lshl_b64 s[2:3], s[12:13], 2
	v_mov_b32_e32 v3, v1
	v_lshl_add_u64 v[4:5], v[4:5], 2, s[2:3]
	s_waitcnt lgkmcnt(0)
	s_lshl_b32 s4, s4, 3
	v_lshl_add_u64 v[2:3], v[2:3], 2, v[4:5]
	v_lshl_add_u64 v[2:3], s[0:1], 0, v[2:3]
	s_mul_i32 s0, s15, s4
	s_mul_hi_u32 s1, s14, s4
	s_add_i32 s1, s1, s0
	s_mul_i32 s0, s14, s4
	s_lshl_b64 s[2:3], s[0:1], 2
	v_cmp_neq_f32_e64 s[0:1], s16, 0
	s_mov_b64 s[8:9], 0
	s_nop 0
	v_cndmask_b32_e64 v4, 0, 1, s[0:1]
	v_cmp_ne_u32_e64 s[0:1], 1, v4
	s_branch .LBB32_5
.LBB32_3:                               ;   in Loop: Header=BB32_5 Depth=1
	flat_load_dword v4, v[2:3]
	s_waitcnt vmcnt(0) lgkmcnt(0)
	v_mul_f32_e32 v4, s16, v4
.LBB32_4:                               ;   in Loop: Header=BB32_5 Depth=1
	v_lshl_add_u64 v[0:1], v[0:1], 0, s[4:5]
	v_cmp_le_i64_e32 vcc, s[6:7], v[0:1]
	flat_store_dword v[2:3], v4
	s_or_b64 s[8:9], vcc, s[8:9]
	v_lshl_add_u64 v[2:3], v[2:3], 0, s[2:3]
	s_andn2_b64 exec, exec, s[8:9]
	s_cbranch_execz .LBB32_7
.LBB32_5:                               ; =>This Inner Loop Header: Depth=1
	s_and_b64 vcc, exec, s[0:1]
	s_cbranch_vccz .LBB32_3
; %bb.6:                                ;   in Loop: Header=BB32_5 Depth=1
	v_mov_b32_e32 v4, 0
	s_branch .LBB32_4
.LBB32_7:
	s_endpgm
	.section	.rodata,"a",@progbits
	.p2align	6, 0x0
	.amdhsa_kernel _ZL25rocblas_symm_scale_kernelILi128ELi8EPKfPKPfEviiT1_T2_llli
		.amdhsa_group_segment_fixed_size 0
		.amdhsa_private_segment_fixed_size 0
		.amdhsa_kernarg_size 312
		.amdhsa_user_sgpr_count 2
		.amdhsa_user_sgpr_dispatch_ptr 0
		.amdhsa_user_sgpr_queue_ptr 0
		.amdhsa_user_sgpr_kernarg_segment_ptr 1
		.amdhsa_user_sgpr_dispatch_id 0
		.amdhsa_user_sgpr_kernarg_preload_length 0
		.amdhsa_user_sgpr_kernarg_preload_offset 0
		.amdhsa_user_sgpr_private_segment_size 0
		.amdhsa_uses_dynamic_stack 0
		.amdhsa_enable_private_segment 0
		.amdhsa_system_sgpr_workgroup_id_x 1
		.amdhsa_system_sgpr_workgroup_id_y 1
		.amdhsa_system_sgpr_workgroup_id_z 1
		.amdhsa_system_sgpr_workgroup_info 0
		.amdhsa_system_vgpr_workitem_id 1
		.amdhsa_next_free_vgpr 8
		.amdhsa_next_free_sgpr 17
		.amdhsa_accum_offset 8
		.amdhsa_reserve_vcc 1
		.amdhsa_float_round_mode_32 0
		.amdhsa_float_round_mode_16_64 0
		.amdhsa_float_denorm_mode_32 3
		.amdhsa_float_denorm_mode_16_64 3
		.amdhsa_dx10_clamp 1
		.amdhsa_ieee_mode 1
		.amdhsa_fp16_overflow 0
		.amdhsa_tg_split 0
		.amdhsa_exception_fp_ieee_invalid_op 0
		.amdhsa_exception_fp_denorm_src 0
		.amdhsa_exception_fp_ieee_div_zero 0
		.amdhsa_exception_fp_ieee_overflow 0
		.amdhsa_exception_fp_ieee_underflow 0
		.amdhsa_exception_fp_ieee_inexact 0
		.amdhsa_exception_int_div_zero 0
	.end_amdhsa_kernel
	.section	.text._ZL25rocblas_symm_scale_kernelILi128ELi8EPKfPKPfEviiT1_T2_llli,"axG",@progbits,_ZL25rocblas_symm_scale_kernelILi128ELi8EPKfPKPfEviiT1_T2_llli,comdat
.Lfunc_end32:
	.size	_ZL25rocblas_symm_scale_kernelILi128ELi8EPKfPKPfEviiT1_T2_llli, .Lfunc_end32-_ZL25rocblas_symm_scale_kernelILi128ELi8EPKfPKPfEviiT1_T2_llli
                                        ; -- End function
	.set _ZL25rocblas_symm_scale_kernelILi128ELi8EPKfPKPfEviiT1_T2_llli.num_vgpr, 8
	.set _ZL25rocblas_symm_scale_kernelILi128ELi8EPKfPKPfEviiT1_T2_llli.num_agpr, 0
	.set _ZL25rocblas_symm_scale_kernelILi128ELi8EPKfPKPfEviiT1_T2_llli.numbered_sgpr, 17
	.set _ZL25rocblas_symm_scale_kernelILi128ELi8EPKfPKPfEviiT1_T2_llli.num_named_barrier, 0
	.set _ZL25rocblas_symm_scale_kernelILi128ELi8EPKfPKPfEviiT1_T2_llli.private_seg_size, 0
	.set _ZL25rocblas_symm_scale_kernelILi128ELi8EPKfPKPfEviiT1_T2_llli.uses_vcc, 1
	.set _ZL25rocblas_symm_scale_kernelILi128ELi8EPKfPKPfEviiT1_T2_llli.uses_flat_scratch, 0
	.set _ZL25rocblas_symm_scale_kernelILi128ELi8EPKfPKPfEviiT1_T2_llli.has_dyn_sized_stack, 0
	.set _ZL25rocblas_symm_scale_kernelILi128ELi8EPKfPKPfEviiT1_T2_llli.has_recursion, 0
	.set _ZL25rocblas_symm_scale_kernelILi128ELi8EPKfPKPfEviiT1_T2_llli.has_indirect_call, 0
	.section	.AMDGPU.csdata,"",@progbits
; Kernel info:
; codeLenInByte = 348
; TotalNumSgprs: 23
; NumVgprs: 8
; NumAgprs: 0
; TotalNumVgprs: 8
; ScratchSize: 0
; MemoryBound: 0
; FloatMode: 240
; IeeeMode: 1
; LDSByteSize: 0 bytes/workgroup (compile time only)
; SGPRBlocks: 2
; VGPRBlocks: 0
; NumSGPRsForWavesPerEU: 23
; NumVGPRsForWavesPerEU: 8
; AccumOffset: 8
; Occupancy: 8
; WaveLimiterHint : 0
; COMPUTE_PGM_RSRC2:SCRATCH_EN: 0
; COMPUTE_PGM_RSRC2:USER_SGPR: 2
; COMPUTE_PGM_RSRC2:TRAP_HANDLER: 0
; COMPUTE_PGM_RSRC2:TGID_X_EN: 1
; COMPUTE_PGM_RSRC2:TGID_Y_EN: 1
; COMPUTE_PGM_RSRC2:TGID_Z_EN: 1
; COMPUTE_PGM_RSRC2:TIDIG_COMP_CNT: 1
; COMPUTE_PGM_RSRC3_GFX90A:ACCUM_OFFSET: 1
; COMPUTE_PGM_RSRC3_GFX90A:TG_SPLIT: 0
	.section	.text._ZL24rocblas_symm_hemm_kernelILb0ELb0ELi32EPKfPKS1_PKPfEvbiiT2_T3_lllS8_lllT4_llli,"axG",@progbits,_ZL24rocblas_symm_hemm_kernelILb0ELb0ELi32EPKfPKS1_PKPfEvbiiT2_T3_lllS8_lllT4_llli,comdat
	.globl	_ZL24rocblas_symm_hemm_kernelILb0ELb0ELi32EPKfPKS1_PKPfEvbiiT2_T3_lllS8_lllT4_llli ; -- Begin function _ZL24rocblas_symm_hemm_kernelILb0ELb0ELi32EPKfPKS1_PKPfEvbiiT2_T3_lllS8_lllT4_llli
	.p2align	8
	.type	_ZL24rocblas_symm_hemm_kernelILb0ELb0ELi32EPKfPKS1_PKPfEvbiiT2_T3_lllS8_lllT4_llli,@function
_ZL24rocblas_symm_hemm_kernelILb0ELb0ELi32EPKfPKS1_PKPfEvbiiT2_T3_lllS8_lllT4_llli: ; @_ZL24rocblas_symm_hemm_kernelILb0ELb0ELi32EPKfPKS1_PKPfEvbiiT2_T3_lllS8_lllT4_llli
; %bb.0:
	s_load_dwordx8 s[8:15], s[0:1], 0x10
	s_waitcnt lgkmcnt(0)
	s_load_dword s28, s[8:9], 0x0
	s_waitcnt lgkmcnt(0)
	v_cmp_eq_f32_e64 s[6:7], s28, 0
	s_and_b64 vcc, exec, s[6:7]
	s_cbranch_vccnz .LBB33_13
; %bb.1:
	s_load_dwordx4 s[16:19], s[0:1], 0x0
	s_waitcnt lgkmcnt(0)
	s_add_i32 s5, s18, -1
	s_ashr_i32 s6, s5, 31
	s_lshr_b32 s6, s6, 27
	s_add_i32 s5, s5, s6
	s_ashr_i32 s19, s5, 5
	s_cmp_gt_i32 s3, s19
	s_cbranch_scc1 .LBB33_13
; %bb.2:
	s_mov_b32 s5, 0
	s_lshl_b64 s[8:9], s[4:5], 3
	s_add_u32 s20, s10, s8
	s_addc_u32 s21, s11, s9
	s_load_dwordx2 s[22:23], s[20:21], 0x0
	s_load_dwordx4 s[4:7], s[0:1], 0x38
	s_load_dwordx2 s[10:11], s[0:1], 0x48
	s_lshl_b64 s[12:13], s[12:13], 2
	v_and_b32_e32 v10, 0x3ff, v0
	s_waitcnt lgkmcnt(0)
	s_add_u32 s12, s22, s12
	s_addc_u32 s13, s23, s13
	s_add_u32 s4, s4, s8
	s_addc_u32 s5, s5, s9
	s_load_dwordx2 s[22:23], s[4:5], 0x0
	s_load_dwordx4 s[24:27], s[0:1], 0x58
	s_load_dwordx2 s[20:21], s[0:1], 0x68
	s_lshl_b64 s[4:5], s[6:7], 2
	v_bfe_u32 v11, v0, 10, 10
	s_waitcnt lgkmcnt(0)
	s_add_u32 s22, s22, s4
	s_addc_u32 s23, s23, s5
	s_add_u32 s4, s24, s8
	s_addc_u32 s5, s25, s9
	s_load_dwordx2 s[4:5], s[4:5], 0x0
	s_bitcmp1_b32 s16, 0
	s_cselect_b64 s[6:7], -1, 0
	s_lshl_b64 s[8:9], s[26:27], 2
	v_lshl_add_u32 v0, s2, 5, v10
	s_waitcnt lgkmcnt(0)
	s_add_u32 s4, s4, s8
	s_addc_u32 s5, s5, s9
	s_load_dword s2, s[0:1], 0x84
	s_cmp_gt_i32 s17, 0
	v_lshlrev_b32_e32 v12, 7, v10
	v_lshlrev_b32_e32 v1, 2, v11
	v_add_u32_e32 v13, v12, v1
	v_or_b32_e32 v14, 0x1000, v1
	v_ashrrev_i32_e32 v1, 31, v0
	s_cselect_b64 s[0:1], -1, 0
	v_lshl_add_u64 v[2:3], v[0:1], 2, s[4:5]
	v_cndmask_b32_e64 v1, 0, 1, s[0:1]
	v_add_u32_e32 v15, v14, v12
	v_cmp_gt_i32_e64 s[8:9], s17, v0
	v_cmp_ne_u32_e64 s[4:5], 1, v1
	v_add_u32_e32 v1, 0x400, v14
	v_add_u32_e32 v16, 0x800, v14
	;; [unrolled: 1-line block ×3, first 2 shown]
	s_branch .LBB33_4
.LBB33_3:                               ;   in Loop: Header=BB33_4 Depth=1
	s_waitcnt lgkmcnt(0)
	s_add_i32 s3, s3, s2
	s_cmp_gt_i32 s3, s19
	s_cbranch_scc1 .LBB33_13
.LBB33_4:                               ; =>This Loop Header: Depth=1
                                        ;     Child Loop BB33_7 Depth 2
	s_and_b64 vcc, exec, s[4:5]
	s_cbranch_vccnz .LBB33_3
; %bb.5:                                ;   in Loop: Header=BB33_4 Depth=1
	v_lshl_add_u32 v6, s3, 5, v11
	v_ashrrev_i32_e32 v7, 31, v6
	v_mul_lo_u32 v8, s10, v7
	v_mul_lo_u32 v9, s11, v6
	v_mad_u64_u32 v[4:5], s[0:1], s10, v6, 0
	v_cmp_gt_i32_e32 vcc, s18, v6
	v_add3_u32 v5, v5, v8, v9
	v_mul_lo_u32 v8, s20, v7
	v_mul_lo_u32 v9, s21, v6
	v_mad_u64_u32 v[6:7], s[0:1], s20, v6, 0
	v_add3_u32 v7, v7, v8, v9
	v_lshl_add_u64 v[4:5], v[4:5], 2, s[22:23]
	s_and_b64 s[24:25], s[8:9], vcc
	v_lshl_add_u64 v[6:7], v[6:7], 2, v[2:3]
	s_mov_b32 s16, 0
	s_branch .LBB33_7
.LBB33_6:                               ;   in Loop: Header=BB33_7 Depth=2
	s_or_b64 exec, exec, s[0:1]
	s_add_i32 s16, s16, 32
	s_cmp_ge_i32 s16, s17
	s_waitcnt lgkmcnt(0)
	s_barrier
	s_cbranch_scc1 .LBB33_3
.LBB33_7:                               ;   Parent Loop BB33_4 Depth=1
                                        ; =>  This Inner Loop Header: Depth=2
	v_add_u32_e32 v9, s16, v11
	v_cndmask_b32_e64 v8, v9, v0, s[6:7]
	v_cndmask_b32_e64 v18, v0, v9, s[6:7]
	v_cmp_gt_i32_e64 s[0:1], v8, v18
	v_mov_b32_e32 v19, 0
	s_nop 0
	v_cndmask_b32_e64 v8, v0, v9, s[0:1]
	v_cndmask_b32_e64 v9, v9, v0, s[0:1]
	v_max_i32_e32 v18, v8, v9
	v_cmp_gt_i32_e64 s[0:1], s17, v18
	v_mov_b32_e32 v18, 0
	s_and_saveexec_b64 s[26:27], s[0:1]
	s_cbranch_execz .LBB33_9
; %bb.8:                                ;   in Loop: Header=BB33_7 Depth=2
	v_ashrrev_i32_e32 v19, 31, v9
	v_mul_lo_u32 v22, s15, v9
	v_mul_lo_u32 v19, s14, v19
	v_mad_u64_u32 v[20:21], s[0:1], s14, v9, 0
	v_add3_u32 v21, v21, v19, v22
	v_ashrrev_i32_e32 v9, 31, v8
	v_lshl_add_u64 v[20:21], v[20:21], 2, s[12:13]
	v_lshl_add_u64 v[8:9], v[8:9], 2, v[20:21]
	flat_load_dword v19, v[8:9]
.LBB33_9:                               ;   in Loop: Header=BB33_7 Depth=2
	s_or_b64 exec, exec, s[26:27]
	v_add_u32_e32 v8, s16, v10
	v_cmp_gt_i32_e64 s[0:1], s17, v8
	s_and_b64 s[26:27], s[0:1], vcc
	s_waitcnt vmcnt(0) lgkmcnt(0)
	ds_write_b32 v13, v19
	s_and_saveexec_b64 s[0:1], s[26:27]
	s_cbranch_execz .LBB33_11
; %bb.10:                               ;   in Loop: Header=BB33_7 Depth=2
	v_ashrrev_i32_e32 v9, 31, v8
	v_lshl_add_u64 v[8:9], v[8:9], 2, v[4:5]
	flat_load_dword v18, v[8:9]
.LBB33_11:                              ;   in Loop: Header=BB33_7 Depth=2
	s_or_b64 exec, exec, s[0:1]
	s_waitcnt vmcnt(0) lgkmcnt(0)
	ds_write_b32 v15, v18
	s_waitcnt lgkmcnt(0)
	s_barrier
	s_and_saveexec_b64 s[0:1], s[24:25]
	s_cbranch_execz .LBB33_6
; %bb.12:                               ;   in Loop: Header=BB33_7 Depth=2
	flat_load_dword v38, v[6:7]
	ds_read2_b32 v[8:9], v14 offset1:32
	ds_read_b128 v[18:21], v12
	ds_read_b128 v[22:25], v12 offset:16
	ds_read2_b32 v[34:35], v14 offset0:64 offset1:96
	ds_read_b128 v[26:29], v12 offset:32
	ds_read_b128 v[30:33], v12 offset:48
	ds_read2_b32 v[36:37], v14 offset0:128 offset1:160
	s_waitcnt lgkmcnt(0)
	v_fma_f32 v39, v18, v8, 0
	v_fmac_f32_e32 v39, v19, v9
	ds_read2_b32 v[8:9], v14 offset0:192 offset1:224
	v_fmac_f32_e32 v39, v20, v34
	v_fmac_f32_e32 v39, v21, v35
	ds_read2_b32 v[18:19], v1 offset1:32
	v_fmac_f32_e32 v39, v22, v36
	v_fmac_f32_e32 v39, v23, v37
	ds_read2_b32 v[20:21], v1 offset0:64 offset1:96
	s_waitcnt lgkmcnt(0)
	v_fmac_f32_e32 v39, v24, v8
	v_fmac_f32_e32 v39, v25, v9
	ds_read2_b32 v[8:9], v1 offset0:128 offset1:160
	v_fmac_f32_e32 v39, v26, v18
	v_fmac_f32_e32 v39, v27, v19
	v_fmac_f32_e32 v39, v28, v20
	ds_read2_b32 v[22:23], v1 offset0:192 offset1:224
	v_fmac_f32_e32 v39, v29, v21
	s_waitcnt lgkmcnt(0)
	v_fmac_f32_e32 v39, v30, v8
	v_fmac_f32_e32 v39, v31, v9
	ds_read_b128 v[18:21], v12 offset:64
	ds_read2_b32 v[8:9], v16 offset1:32
	v_fmac_f32_e32 v39, v32, v22
	v_fmac_f32_e32 v39, v33, v23
	ds_read2_b32 v[26:27], v16 offset0:64 offset1:96
	ds_read_b128 v[22:25], v12 offset:80
	ds_read2_b32 v[28:29], v16 offset0:128 offset1:160
	s_waitcnt lgkmcnt(0)
	v_fmac_f32_e32 v39, v18, v8
	v_fmac_f32_e32 v39, v19, v9
	ds_read2_b32 v[8:9], v16 offset0:192 offset1:224
	v_fmac_f32_e32 v39, v20, v26
	v_fmac_f32_e32 v39, v21, v27
	ds_read2_b32 v[26:27], v17 offset1:32
	ds_read_b128 v[18:21], v12 offset:96
	v_fmac_f32_e32 v39, v22, v28
	v_fmac_f32_e32 v39, v23, v29
	s_waitcnt lgkmcnt(0)
	v_pk_mul_f32 v[8:9], v[24:25], v[8:9]
	v_pk_mul_f32 v[18:19], v[18:19], v[26:27]
	v_add_f32_e32 v8, v39, v8
	v_add_f32_e32 v28, v8, v9
	ds_read2_b32 v[8:9], v17 offset0:64 offset1:96
	ds_read_b128 v[22:25], v12 offset:112
	v_add_f32_e32 v18, v28, v18
	v_add_f32_e32 v26, v18, v19
	ds_read2_b32 v[18:19], v17 offset0:128 offset1:160
	s_waitcnt lgkmcnt(0)
	v_pk_mul_f32 v[8:9], v[20:21], v[8:9]
	ds_read2_b32 v[20:21], v17 offset0:192 offset1:224
	v_add_f32_e32 v8, v26, v8
	v_add_f32_e32 v26, v8, v9
	v_pk_mul_f32 v[8:9], v[22:23], v[18:19]
	s_nop 0
	v_add_f32_e32 v8, v26, v8
	v_add_f32_e32 v18, v8, v9
	s_waitcnt lgkmcnt(0)
	v_pk_mul_f32 v[8:9], v[24:25], v[20:21]
	s_nop 0
	v_add_f32_e32 v8, v18, v8
	v_add_f32_e32 v8, v8, v9
	s_waitcnt vmcnt(0)
	v_fmac_f32_e32 v38, s28, v8
	flat_store_dword v[6:7], v38
	s_branch .LBB33_6
.LBB33_13:
	s_endpgm
	.section	.rodata,"a",@progbits
	.p2align	6, 0x0
	.amdhsa_kernel _ZL24rocblas_symm_hemm_kernelILb0ELb0ELi32EPKfPKS1_PKPfEvbiiT2_T3_lllS8_lllT4_llli
		.amdhsa_group_segment_fixed_size 8192
		.amdhsa_private_segment_fixed_size 0
		.amdhsa_kernarg_size 384
		.amdhsa_user_sgpr_count 2
		.amdhsa_user_sgpr_dispatch_ptr 0
		.amdhsa_user_sgpr_queue_ptr 0
		.amdhsa_user_sgpr_kernarg_segment_ptr 1
		.amdhsa_user_sgpr_dispatch_id 0
		.amdhsa_user_sgpr_kernarg_preload_length 0
		.amdhsa_user_sgpr_kernarg_preload_offset 0
		.amdhsa_user_sgpr_private_segment_size 0
		.amdhsa_uses_dynamic_stack 0
		.amdhsa_enable_private_segment 0
		.amdhsa_system_sgpr_workgroup_id_x 1
		.amdhsa_system_sgpr_workgroup_id_y 1
		.amdhsa_system_sgpr_workgroup_id_z 1
		.amdhsa_system_sgpr_workgroup_info 0
		.amdhsa_system_vgpr_workitem_id 1
		.amdhsa_next_free_vgpr 40
		.amdhsa_next_free_sgpr 29
		.amdhsa_accum_offset 40
		.amdhsa_reserve_vcc 1
		.amdhsa_float_round_mode_32 0
		.amdhsa_float_round_mode_16_64 0
		.amdhsa_float_denorm_mode_32 3
		.amdhsa_float_denorm_mode_16_64 3
		.amdhsa_dx10_clamp 1
		.amdhsa_ieee_mode 1
		.amdhsa_fp16_overflow 0
		.amdhsa_tg_split 0
		.amdhsa_exception_fp_ieee_invalid_op 0
		.amdhsa_exception_fp_denorm_src 0
		.amdhsa_exception_fp_ieee_div_zero 0
		.amdhsa_exception_fp_ieee_overflow 0
		.amdhsa_exception_fp_ieee_underflow 0
		.amdhsa_exception_fp_ieee_inexact 0
		.amdhsa_exception_int_div_zero 0
	.end_amdhsa_kernel
	.section	.text._ZL24rocblas_symm_hemm_kernelILb0ELb0ELi32EPKfPKS1_PKPfEvbiiT2_T3_lllS8_lllT4_llli,"axG",@progbits,_ZL24rocblas_symm_hemm_kernelILb0ELb0ELi32EPKfPKS1_PKPfEvbiiT2_T3_lllS8_lllT4_llli,comdat
.Lfunc_end33:
	.size	_ZL24rocblas_symm_hemm_kernelILb0ELb0ELi32EPKfPKS1_PKPfEvbiiT2_T3_lllS8_lllT4_llli, .Lfunc_end33-_ZL24rocblas_symm_hemm_kernelILb0ELb0ELi32EPKfPKS1_PKPfEvbiiT2_T3_lllS8_lllT4_llli
                                        ; -- End function
	.set _ZL24rocblas_symm_hemm_kernelILb0ELb0ELi32EPKfPKS1_PKPfEvbiiT2_T3_lllS8_lllT4_llli.num_vgpr, 40
	.set _ZL24rocblas_symm_hemm_kernelILb0ELb0ELi32EPKfPKS1_PKPfEvbiiT2_T3_lllS8_lllT4_llli.num_agpr, 0
	.set _ZL24rocblas_symm_hemm_kernelILb0ELb0ELi32EPKfPKS1_PKPfEvbiiT2_T3_lllS8_lllT4_llli.numbered_sgpr, 29
	.set _ZL24rocblas_symm_hemm_kernelILb0ELb0ELi32EPKfPKS1_PKPfEvbiiT2_T3_lllS8_lllT4_llli.num_named_barrier, 0
	.set _ZL24rocblas_symm_hemm_kernelILb0ELb0ELi32EPKfPKS1_PKPfEvbiiT2_T3_lllS8_lllT4_llli.private_seg_size, 0
	.set _ZL24rocblas_symm_hemm_kernelILb0ELb0ELi32EPKfPKS1_PKPfEvbiiT2_T3_lllS8_lllT4_llli.uses_vcc, 1
	.set _ZL24rocblas_symm_hemm_kernelILb0ELb0ELi32EPKfPKS1_PKPfEvbiiT2_T3_lllS8_lllT4_llli.uses_flat_scratch, 0
	.set _ZL24rocblas_symm_hemm_kernelILb0ELb0ELi32EPKfPKS1_PKPfEvbiiT2_T3_lllS8_lllT4_llli.has_dyn_sized_stack, 0
	.set _ZL24rocblas_symm_hemm_kernelILb0ELb0ELi32EPKfPKS1_PKPfEvbiiT2_T3_lllS8_lllT4_llli.has_recursion, 0
	.set _ZL24rocblas_symm_hemm_kernelILb0ELb0ELi32EPKfPKS1_PKPfEvbiiT2_T3_lllS8_lllT4_llli.has_indirect_call, 0
	.section	.AMDGPU.csdata,"",@progbits
; Kernel info:
; codeLenInByte = 1172
; TotalNumSgprs: 35
; NumVgprs: 40
; NumAgprs: 0
; TotalNumVgprs: 40
; ScratchSize: 0
; MemoryBound: 0
; FloatMode: 240
; IeeeMode: 1
; LDSByteSize: 8192 bytes/workgroup (compile time only)
; SGPRBlocks: 4
; VGPRBlocks: 4
; NumSGPRsForWavesPerEU: 35
; NumVGPRsForWavesPerEU: 40
; AccumOffset: 40
; Occupancy: 8
; WaveLimiterHint : 1
; COMPUTE_PGM_RSRC2:SCRATCH_EN: 0
; COMPUTE_PGM_RSRC2:USER_SGPR: 2
; COMPUTE_PGM_RSRC2:TRAP_HANDLER: 0
; COMPUTE_PGM_RSRC2:TGID_X_EN: 1
; COMPUTE_PGM_RSRC2:TGID_Y_EN: 1
; COMPUTE_PGM_RSRC2:TGID_Z_EN: 1
; COMPUTE_PGM_RSRC2:TIDIG_COMP_CNT: 1
; COMPUTE_PGM_RSRC3_GFX90A:ACCUM_OFFSET: 9
; COMPUTE_PGM_RSRC3_GFX90A:TG_SPLIT: 0
	.section	.text._ZL24rocblas_symm_hemm_kernelILb0ELb1ELi32EPKfPKS1_PKPfEvbiiT2_T3_lllS8_lllT4_llli,"axG",@progbits,_ZL24rocblas_symm_hemm_kernelILb0ELb1ELi32EPKfPKS1_PKPfEvbiiT2_T3_lllS8_lllT4_llli,comdat
	.globl	_ZL24rocblas_symm_hemm_kernelILb0ELb1ELi32EPKfPKS1_PKPfEvbiiT2_T3_lllS8_lllT4_llli ; -- Begin function _ZL24rocblas_symm_hemm_kernelILb0ELb1ELi32EPKfPKS1_PKPfEvbiiT2_T3_lllS8_lllT4_llli
	.p2align	8
	.type	_ZL24rocblas_symm_hemm_kernelILb0ELb1ELi32EPKfPKS1_PKPfEvbiiT2_T3_lllS8_lllT4_llli,@function
_ZL24rocblas_symm_hemm_kernelILb0ELb1ELi32EPKfPKS1_PKPfEvbiiT2_T3_lllS8_lllT4_llli: ; @_ZL24rocblas_symm_hemm_kernelILb0ELb1ELi32EPKfPKS1_PKPfEvbiiT2_T3_lllS8_lllT4_llli
; %bb.0:
	s_load_dwordx8 s[8:15], s[0:1], 0x10
	s_waitcnt lgkmcnt(0)
	s_load_dword s22, s[8:9], 0x0
	s_waitcnt lgkmcnt(0)
	v_cmp_eq_f32_e64 s[6:7], s22, 0
	s_and_b64 vcc, exec, s[6:7]
	s_cbranch_vccnz .LBB34_13
; %bb.1:
	s_load_dwordx4 s[16:19], s[0:1], 0x0
	s_waitcnt lgkmcnt(0)
	s_add_i32 s5, s18, -1
	s_ashr_i32 s6, s5, 31
	s_lshr_b32 s6, s6, 27
	s_add_i32 s5, s5, s6
	s_ashr_i32 s19, s5, 5
	s_cmp_gt_i32 s3, s19
	s_cbranch_scc1 .LBB34_13
; %bb.2:
	s_mov_b32 s5, 0
	s_lshl_b64 s[4:5], s[4:5], 3
	s_add_u32 s6, s10, s4
	s_addc_u32 s7, s11, s5
	s_load_dwordx2 s[8:9], s[6:7], 0x0
	s_load_dwordx4 s[24:27], s[0:1], 0x38
	s_load_dwordx2 s[10:11], s[0:1], 0x48
	s_load_dwordx4 s[28:31], s[0:1], 0x58
	s_load_dwordx2 s[20:21], s[0:1], 0x68
	s_lshl_b64 s[6:7], s[12:13], 2
	s_waitcnt lgkmcnt(0)
	s_add_u32 s12, s8, s6
	s_addc_u32 s13, s9, s7
	s_add_u32 s6, s24, s4
	s_addc_u32 s7, s25, s5
	;; [unrolled: 2-line block ×3, first 2 shown]
	s_load_dwordx2 s[8:9], s[4:5], 0x0
	s_load_dwordx2 s[24:25], s[6:7], 0x0
	s_bitcmp1_b32 s16, 0
	s_cselect_b64 s[6:7], -1, 0
	s_lshl_b64 s[4:5], s[30:31], 2
	s_waitcnt lgkmcnt(0)
	s_add_u32 s4, s8, s4
	s_addc_u32 s5, s9, s5
	s_lshl_b64 s[8:9], s[26:27], 2
	s_add_u32 s24, s24, s8
	v_and_b32_e32 v8, 0x3ff, v0
	s_addc_u32 s25, s25, s9
	v_lshl_add_u32 v2, s2, 5, v8
	s_load_dword s2, s[0:1], 0x84
	v_bfe_u32 v9, v0, 10, 10
	s_cmp_gt_i32 s18, 0
	v_ashrrev_i32_e32 v3, 31, v2
	v_lshlrev_b32_e32 v10, 7, v8
	v_lshlrev_b32_e32 v4, 2, v9
	s_cselect_b64 s[0:1], -1, 0
	v_cmp_gt_i32_e64 s[8:9], s17, v2
	v_lshlrev_b64 v[2:3], 2, v[2:3]
	v_add_u32_e32 v11, v10, v4
	v_or_b32_e32 v12, 0x1000, v4
	v_cndmask_b32_e64 v4, 0, 1, s[0:1]
	v_lshl_add_u64 v[0:1], s[24:25], 0, v[2:3]
	v_add_u32_e32 v13, v12, v10
	v_lshl_add_u64 v[2:3], s[4:5], 0, v[2:3]
	v_cmp_ne_u32_e64 s[4:5], 1, v4
	v_add_u32_e32 v14, 0x400, v12
	v_add_u32_e32 v15, 0x800, v12
	;; [unrolled: 1-line block ×3, first 2 shown]
	s_branch .LBB34_4
.LBB34_3:                               ;   in Loop: Header=BB34_4 Depth=1
	s_waitcnt lgkmcnt(0)
	s_add_i32 s3, s3, s2
	s_cmp_gt_i32 s3, s19
	s_cbranch_scc1 .LBB34_13
.LBB34_4:                               ; =>This Loop Header: Depth=1
                                        ;     Child Loop BB34_7 Depth 2
	s_and_b64 vcc, exec, s[4:5]
	s_cbranch_vccnz .LBB34_3
; %bb.5:                                ;   in Loop: Header=BB34_4 Depth=1
	v_lshl_add_u32 v17, s3, 5, v9
	v_ashrrev_i32_e32 v4, 31, v17
	v_mul_lo_u32 v6, s20, v4
	v_mul_lo_u32 v7, s21, v17
	v_mad_u64_u32 v[4:5], s[16:17], s20, v17, 0
	v_cmp_gt_i32_e32 vcc, s18, v17
	v_add3_u32 v5, v5, v6, v7
	s_and_b64 s[0:1], s[8:9], vcc
	v_lshl_add_u64 v[4:5], v[4:5], 2, v[2:3]
	s_mov_b32 s23, 0
	s_branch .LBB34_7
.LBB34_6:                               ;   in Loop: Header=BB34_7 Depth=2
	s_or_b64 exec, exec, s[16:17]
	s_add_i32 s23, s23, 32
	s_cmp_ge_i32 s23, s18
	s_waitcnt lgkmcnt(0)
	s_barrier
	s_cbranch_scc1 .LBB34_3
.LBB34_7:                               ;   Parent Loop BB34_4 Depth=1
                                        ; =>  This Inner Loop Header: Depth=2
	v_add_u32_e32 v6, s23, v9
	v_cmp_gt_i32_e32 vcc, s18, v6
	s_and_b64 s[24:25], s[8:9], vcc
	v_mov_b32_e32 v7, 0
	v_mov_b32_e32 v18, 0
	s_and_saveexec_b64 s[16:17], s[24:25]
	s_cbranch_execz .LBB34_9
; %bb.8:                                ;   in Loop: Header=BB34_7 Depth=2
	v_ashrrev_i32_e32 v18, 31, v6
	v_mul_lo_u32 v20, s11, v6
	v_mul_lo_u32 v21, s10, v18
	v_mad_u64_u32 v[18:19], s[24:25], s10, v6, 0
	v_add3_u32 v19, v19, v21, v20
	v_lshl_add_u64 v[18:19], v[18:19], 2, v[0:1]
	flat_load_dword v18, v[18:19]
.LBB34_9:                               ;   in Loop: Header=BB34_7 Depth=2
	s_or_b64 exec, exec, s[16:17]
	s_waitcnt vmcnt(0) lgkmcnt(0)
	ds_write_b32 v11, v18
	v_add_u32_e32 v18, s23, v8
	v_cndmask_b32_e64 v6, v17, v18, s[6:7]
	v_cndmask_b32_e64 v19, v18, v17, s[6:7]
	v_cmp_gt_i32_e32 vcc, v6, v19
	s_nop 1
	v_cndmask_b32_e32 v6, v18, v17, vcc
	v_cndmask_b32_e32 v18, v17, v18, vcc
	v_max_i32_e32 v19, v6, v18
	v_cmp_gt_i32_e32 vcc, s18, v19
	s_and_saveexec_b64 s[16:17], vcc
	s_cbranch_execz .LBB34_11
; %bb.10:                               ;   in Loop: Header=BB34_7 Depth=2
	v_ashrrev_i32_e32 v7, 31, v18
	v_mul_lo_u32 v20, s15, v18
	v_mul_lo_u32 v7, s14, v7
	v_mad_u64_u32 v[18:19], s[24:25], s14, v18, 0
	v_add3_u32 v19, v19, v7, v20
	v_ashrrev_i32_e32 v7, 31, v6
	v_lshl_add_u64 v[18:19], v[18:19], 2, s[12:13]
	v_lshl_add_u64 v[6:7], v[6:7], 2, v[18:19]
	flat_load_dword v7, v[6:7]
.LBB34_11:                              ;   in Loop: Header=BB34_7 Depth=2
	s_or_b64 exec, exec, s[16:17]
	s_waitcnt vmcnt(0) lgkmcnt(0)
	ds_write_b32 v13, v7
	s_waitcnt lgkmcnt(0)
	s_barrier
	s_and_saveexec_b64 s[16:17], s[0:1]
	s_cbranch_execz .LBB34_6
; %bb.12:                               ;   in Loop: Header=BB34_7 Depth=2
	flat_load_dword v38, v[4:5]
	ds_read2_b32 v[6:7], v12 offset1:32
	ds_read_b128 v[18:21], v10
	ds_read_b128 v[22:25], v10 offset:16
	ds_read2_b32 v[34:35], v12 offset0:64 offset1:96
	ds_read_b128 v[26:29], v10 offset:32
	ds_read_b128 v[30:33], v10 offset:48
	ds_read2_b32 v[36:37], v12 offset0:128 offset1:160
	s_waitcnt lgkmcnt(0)
	v_fma_f32 v39, v18, v6, 0
	v_fmac_f32_e32 v39, v19, v7
	ds_read2_b32 v[6:7], v12 offset0:192 offset1:224
	v_fmac_f32_e32 v39, v20, v34
	v_fmac_f32_e32 v39, v21, v35
	ds_read2_b32 v[18:19], v14 offset1:32
	v_fmac_f32_e32 v39, v22, v36
	v_fmac_f32_e32 v39, v23, v37
	ds_read2_b32 v[20:21], v14 offset0:64 offset1:96
	s_waitcnt lgkmcnt(0)
	v_fmac_f32_e32 v39, v24, v6
	v_fmac_f32_e32 v39, v25, v7
	ds_read2_b32 v[6:7], v14 offset0:128 offset1:160
	v_fmac_f32_e32 v39, v26, v18
	v_fmac_f32_e32 v39, v27, v19
	v_fmac_f32_e32 v39, v28, v20
	ds_read2_b32 v[22:23], v14 offset0:192 offset1:224
	v_fmac_f32_e32 v39, v29, v21
	s_waitcnt lgkmcnt(0)
	v_fmac_f32_e32 v39, v30, v6
	v_fmac_f32_e32 v39, v31, v7
	ds_read_b128 v[18:21], v10 offset:64
	ds_read2_b32 v[6:7], v15 offset1:32
	v_fmac_f32_e32 v39, v32, v22
	v_fmac_f32_e32 v39, v33, v23
	ds_read2_b32 v[26:27], v15 offset0:64 offset1:96
	ds_read_b128 v[22:25], v10 offset:80
	ds_read2_b32 v[28:29], v15 offset0:128 offset1:160
	s_waitcnt lgkmcnt(0)
	v_fmac_f32_e32 v39, v18, v6
	v_fmac_f32_e32 v39, v19, v7
	ds_read2_b32 v[6:7], v15 offset0:192 offset1:224
	v_fmac_f32_e32 v39, v20, v26
	v_fmac_f32_e32 v39, v21, v27
	ds_read2_b32 v[26:27], v16 offset1:32
	ds_read_b128 v[18:21], v10 offset:96
	v_fmac_f32_e32 v39, v22, v28
	v_fmac_f32_e32 v39, v23, v29
	s_waitcnt lgkmcnt(0)
	v_pk_mul_f32 v[6:7], v[24:25], v[6:7]
	v_pk_mul_f32 v[18:19], v[18:19], v[26:27]
	v_add_f32_e32 v6, v39, v6
	v_add_f32_e32 v28, v6, v7
	ds_read2_b32 v[6:7], v16 offset0:64 offset1:96
	ds_read_b128 v[22:25], v10 offset:112
	v_add_f32_e32 v18, v28, v18
	v_add_f32_e32 v26, v18, v19
	ds_read2_b32 v[18:19], v16 offset0:128 offset1:160
	s_waitcnt lgkmcnt(0)
	v_pk_mul_f32 v[6:7], v[20:21], v[6:7]
	ds_read2_b32 v[20:21], v16 offset0:192 offset1:224
	v_add_f32_e32 v6, v26, v6
	v_add_f32_e32 v26, v6, v7
	v_pk_mul_f32 v[6:7], v[22:23], v[18:19]
	s_nop 0
	v_add_f32_e32 v6, v26, v6
	v_add_f32_e32 v18, v6, v7
	s_waitcnt lgkmcnt(0)
	v_pk_mul_f32 v[6:7], v[24:25], v[20:21]
	s_nop 0
	v_add_f32_e32 v6, v18, v6
	v_add_f32_e32 v6, v6, v7
	s_waitcnt vmcnt(0)
	v_fmac_f32_e32 v38, s22, v6
	flat_store_dword v[4:5], v38
	s_branch .LBB34_6
.LBB34_13:
	s_endpgm
	.section	.rodata,"a",@progbits
	.p2align	6, 0x0
	.amdhsa_kernel _ZL24rocblas_symm_hemm_kernelILb0ELb1ELi32EPKfPKS1_PKPfEvbiiT2_T3_lllS8_lllT4_llli
		.amdhsa_group_segment_fixed_size 8192
		.amdhsa_private_segment_fixed_size 0
		.amdhsa_kernarg_size 384
		.amdhsa_user_sgpr_count 2
		.amdhsa_user_sgpr_dispatch_ptr 0
		.amdhsa_user_sgpr_queue_ptr 0
		.amdhsa_user_sgpr_kernarg_segment_ptr 1
		.amdhsa_user_sgpr_dispatch_id 0
		.amdhsa_user_sgpr_kernarg_preload_length 0
		.amdhsa_user_sgpr_kernarg_preload_offset 0
		.amdhsa_user_sgpr_private_segment_size 0
		.amdhsa_uses_dynamic_stack 0
		.amdhsa_enable_private_segment 0
		.amdhsa_system_sgpr_workgroup_id_x 1
		.amdhsa_system_sgpr_workgroup_id_y 1
		.amdhsa_system_sgpr_workgroup_id_z 1
		.amdhsa_system_sgpr_workgroup_info 0
		.amdhsa_system_vgpr_workitem_id 1
		.amdhsa_next_free_vgpr 40
		.amdhsa_next_free_sgpr 32
		.amdhsa_accum_offset 40
		.amdhsa_reserve_vcc 1
		.amdhsa_float_round_mode_32 0
		.amdhsa_float_round_mode_16_64 0
		.amdhsa_float_denorm_mode_32 3
		.amdhsa_float_denorm_mode_16_64 3
		.amdhsa_dx10_clamp 1
		.amdhsa_ieee_mode 1
		.amdhsa_fp16_overflow 0
		.amdhsa_tg_split 0
		.amdhsa_exception_fp_ieee_invalid_op 0
		.amdhsa_exception_fp_denorm_src 0
		.amdhsa_exception_fp_ieee_div_zero 0
		.amdhsa_exception_fp_ieee_overflow 0
		.amdhsa_exception_fp_ieee_underflow 0
		.amdhsa_exception_fp_ieee_inexact 0
		.amdhsa_exception_int_div_zero 0
	.end_amdhsa_kernel
	.section	.text._ZL24rocblas_symm_hemm_kernelILb0ELb1ELi32EPKfPKS1_PKPfEvbiiT2_T3_lllS8_lllT4_llli,"axG",@progbits,_ZL24rocblas_symm_hemm_kernelILb0ELb1ELi32EPKfPKS1_PKPfEvbiiT2_T3_lllS8_lllT4_llli,comdat
.Lfunc_end34:
	.size	_ZL24rocblas_symm_hemm_kernelILb0ELb1ELi32EPKfPKS1_PKPfEvbiiT2_T3_lllS8_lllT4_llli, .Lfunc_end34-_ZL24rocblas_symm_hemm_kernelILb0ELb1ELi32EPKfPKS1_PKPfEvbiiT2_T3_lllS8_lllT4_llli
                                        ; -- End function
	.set _ZL24rocblas_symm_hemm_kernelILb0ELb1ELi32EPKfPKS1_PKPfEvbiiT2_T3_lllS8_lllT4_llli.num_vgpr, 40
	.set _ZL24rocblas_symm_hemm_kernelILb0ELb1ELi32EPKfPKS1_PKPfEvbiiT2_T3_lllS8_lllT4_llli.num_agpr, 0
	.set _ZL24rocblas_symm_hemm_kernelILb0ELb1ELi32EPKfPKS1_PKPfEvbiiT2_T3_lllS8_lllT4_llli.numbered_sgpr, 32
	.set _ZL24rocblas_symm_hemm_kernelILb0ELb1ELi32EPKfPKS1_PKPfEvbiiT2_T3_lllS8_lllT4_llli.num_named_barrier, 0
	.set _ZL24rocblas_symm_hemm_kernelILb0ELb1ELi32EPKfPKS1_PKPfEvbiiT2_T3_lllS8_lllT4_llli.private_seg_size, 0
	.set _ZL24rocblas_symm_hemm_kernelILb0ELb1ELi32EPKfPKS1_PKPfEvbiiT2_T3_lllS8_lllT4_llli.uses_vcc, 1
	.set _ZL24rocblas_symm_hemm_kernelILb0ELb1ELi32EPKfPKS1_PKPfEvbiiT2_T3_lllS8_lllT4_llli.uses_flat_scratch, 0
	.set _ZL24rocblas_symm_hemm_kernelILb0ELb1ELi32EPKfPKS1_PKPfEvbiiT2_T3_lllS8_lllT4_llli.has_dyn_sized_stack, 0
	.set _ZL24rocblas_symm_hemm_kernelILb0ELb1ELi32EPKfPKS1_PKPfEvbiiT2_T3_lllS8_lllT4_llli.has_recursion, 0
	.set _ZL24rocblas_symm_hemm_kernelILb0ELb1ELi32EPKfPKS1_PKPfEvbiiT2_T3_lllS8_lllT4_llli.has_indirect_call, 0
	.section	.AMDGPU.csdata,"",@progbits
; Kernel info:
; codeLenInByte = 1156
; TotalNumSgprs: 38
; NumVgprs: 40
; NumAgprs: 0
; TotalNumVgprs: 40
; ScratchSize: 0
; MemoryBound: 0
; FloatMode: 240
; IeeeMode: 1
; LDSByteSize: 8192 bytes/workgroup (compile time only)
; SGPRBlocks: 4
; VGPRBlocks: 4
; NumSGPRsForWavesPerEU: 38
; NumVGPRsForWavesPerEU: 40
; AccumOffset: 40
; Occupancy: 8
; WaveLimiterHint : 1
; COMPUTE_PGM_RSRC2:SCRATCH_EN: 0
; COMPUTE_PGM_RSRC2:USER_SGPR: 2
; COMPUTE_PGM_RSRC2:TRAP_HANDLER: 0
; COMPUTE_PGM_RSRC2:TGID_X_EN: 1
; COMPUTE_PGM_RSRC2:TGID_Y_EN: 1
; COMPUTE_PGM_RSRC2:TGID_Z_EN: 1
; COMPUTE_PGM_RSRC2:TIDIG_COMP_CNT: 1
; COMPUTE_PGM_RSRC3_GFX90A:ACCUM_OFFSET: 9
; COMPUTE_PGM_RSRC3_GFX90A:TG_SPLIT: 0
	.section	.text._ZL25rocblas_symm_scale_kernelILi128ELi8EfPKPfEviiT1_T2_llli,"axG",@progbits,_ZL25rocblas_symm_scale_kernelILi128ELi8EfPKPfEviiT1_T2_llli,comdat
	.globl	_ZL25rocblas_symm_scale_kernelILi128ELi8EfPKPfEviiT1_T2_llli ; -- Begin function _ZL25rocblas_symm_scale_kernelILi128ELi8EfPKPfEviiT1_T2_llli
	.p2align	8
	.type	_ZL25rocblas_symm_scale_kernelILi128ELi8EfPKPfEviiT1_T2_llli,@function
_ZL25rocblas_symm_scale_kernelILi128ELi8EfPKPfEviiT1_T2_llli: ; @_ZL25rocblas_symm_scale_kernelILi128ELi8EfPKPfEviiT1_T2_llli
; %bb.0:
	s_load_dwordx4 s[8:11], s[0:1], 0x0
	s_waitcnt lgkmcnt(0)
	v_cmp_eq_f32_e64 s[6:7], s10, 1.0
	s_and_b64 vcc, exec, s[6:7]
	s_cbranch_vccnz .LBB35_7
; %bb.1:
	v_and_b32_e32 v1, 0x3ff, v0
	v_bfe_u32 v0, v0, 10, 10
	v_lshl_add_u32 v2, s2, 7, v1
	v_lshl_add_u32 v0, s3, 3, v0
	v_mov_b32_e32 v1, 0
	s_ashr_i32 s7, s9, 31
	s_mov_b32 s6, s9
	v_cmp_gt_u32_e32 vcc, s8, v2
	v_cmp_gt_i64_e64 s[2:3], s[6:7], v[0:1]
	s_and_b64 s[2:3], vcc, s[2:3]
	s_and_saveexec_b64 s[8:9], s[2:3]
	s_cbranch_execz .LBB35_7
; %bb.2:
	s_load_dwordx4 s[12:15], s[0:1], 0x10
	s_load_dwordx2 s[2:3], s[0:1], 0x20
	s_load_dword s8, s[0:1], 0x3c
	s_mov_b32 s5, 0
	s_lshl_b64 s[0:1], s[4:5], 3
	s_waitcnt lgkmcnt(0)
	s_add_u32 s0, s12, s0
	s_addc_u32 s1, s13, s1
	s_lshl_b32 s4, s8, 3
	v_mad_u64_u32 v[4:5], s[8:9], s2, v0, 0
	s_load_dwordx2 s[0:1], s[0:1], 0x0
	v_mov_b32_e32 v6, v5
	v_mad_u64_u32 v[6:7], s[8:9], s3, v0, v[6:7]
	v_mov_b32_e32 v5, v6
	s_lshl_b64 s[8:9], s[14:15], 2
	v_mov_b32_e32 v3, v1
	v_lshl_add_u64 v[4:5], v[4:5], 2, s[8:9]
	v_lshl_add_u64 v[2:3], v[2:3], 2, v[4:5]
	s_waitcnt lgkmcnt(0)
	v_lshl_add_u64 v[2:3], s[0:1], 0, v[2:3]
	s_mul_i32 s0, s3, s4
	s_mul_hi_u32 s1, s2, s4
	s_add_i32 s1, s1, s0
	s_mul_i32 s0, s2, s4
	s_lshl_b64 s[2:3], s[0:1], 2
	v_cmp_neq_f32_e64 s[0:1], s10, 0
	s_mov_b64 s[8:9], 0
	s_nop 0
	v_cndmask_b32_e64 v4, 0, 1, s[0:1]
	v_cmp_ne_u32_e64 s[0:1], 1, v4
	s_branch .LBB35_5
.LBB35_3:                               ;   in Loop: Header=BB35_5 Depth=1
	flat_load_dword v4, v[2:3]
	s_waitcnt vmcnt(0) lgkmcnt(0)
	v_mul_f32_e32 v4, s10, v4
.LBB35_4:                               ;   in Loop: Header=BB35_5 Depth=1
	v_lshl_add_u64 v[0:1], v[0:1], 0, s[4:5]
	v_cmp_le_i64_e32 vcc, s[6:7], v[0:1]
	flat_store_dword v[2:3], v4
	s_or_b64 s[8:9], vcc, s[8:9]
	v_lshl_add_u64 v[2:3], v[2:3], 0, s[2:3]
	s_andn2_b64 exec, exec, s[8:9]
	s_cbranch_execz .LBB35_7
.LBB35_5:                               ; =>This Inner Loop Header: Depth=1
	s_and_b64 vcc, exec, s[0:1]
	s_cbranch_vccz .LBB35_3
; %bb.6:                                ;   in Loop: Header=BB35_5 Depth=1
	v_mov_b32_e32 v4, 0
	s_branch .LBB35_4
.LBB35_7:
	s_endpgm
	.section	.rodata,"a",@progbits
	.p2align	6, 0x0
	.amdhsa_kernel _ZL25rocblas_symm_scale_kernelILi128ELi8EfPKPfEviiT1_T2_llli
		.amdhsa_group_segment_fixed_size 0
		.amdhsa_private_segment_fixed_size 0
		.amdhsa_kernarg_size 312
		.amdhsa_user_sgpr_count 2
		.amdhsa_user_sgpr_dispatch_ptr 0
		.amdhsa_user_sgpr_queue_ptr 0
		.amdhsa_user_sgpr_kernarg_segment_ptr 1
		.amdhsa_user_sgpr_dispatch_id 0
		.amdhsa_user_sgpr_kernarg_preload_length 0
		.amdhsa_user_sgpr_kernarg_preload_offset 0
		.amdhsa_user_sgpr_private_segment_size 0
		.amdhsa_uses_dynamic_stack 0
		.amdhsa_enable_private_segment 0
		.amdhsa_system_sgpr_workgroup_id_x 1
		.amdhsa_system_sgpr_workgroup_id_y 1
		.amdhsa_system_sgpr_workgroup_id_z 1
		.amdhsa_system_sgpr_workgroup_info 0
		.amdhsa_system_vgpr_workitem_id 1
		.amdhsa_next_free_vgpr 8
		.amdhsa_next_free_sgpr 16
		.amdhsa_accum_offset 8
		.amdhsa_reserve_vcc 1
		.amdhsa_float_round_mode_32 0
		.amdhsa_float_round_mode_16_64 0
		.amdhsa_float_denorm_mode_32 3
		.amdhsa_float_denorm_mode_16_64 3
		.amdhsa_dx10_clamp 1
		.amdhsa_ieee_mode 1
		.amdhsa_fp16_overflow 0
		.amdhsa_tg_split 0
		.amdhsa_exception_fp_ieee_invalid_op 0
		.amdhsa_exception_fp_denorm_src 0
		.amdhsa_exception_fp_ieee_div_zero 0
		.amdhsa_exception_fp_ieee_overflow 0
		.amdhsa_exception_fp_ieee_underflow 0
		.amdhsa_exception_fp_ieee_inexact 0
		.amdhsa_exception_int_div_zero 0
	.end_amdhsa_kernel
	.section	.text._ZL25rocblas_symm_scale_kernelILi128ELi8EfPKPfEviiT1_T2_llli,"axG",@progbits,_ZL25rocblas_symm_scale_kernelILi128ELi8EfPKPfEviiT1_T2_llli,comdat
.Lfunc_end35:
	.size	_ZL25rocblas_symm_scale_kernelILi128ELi8EfPKPfEviiT1_T2_llli, .Lfunc_end35-_ZL25rocblas_symm_scale_kernelILi128ELi8EfPKPfEviiT1_T2_llli
                                        ; -- End function
	.set _ZL25rocblas_symm_scale_kernelILi128ELi8EfPKPfEviiT1_T2_llli.num_vgpr, 8
	.set _ZL25rocblas_symm_scale_kernelILi128ELi8EfPKPfEviiT1_T2_llli.num_agpr, 0
	.set _ZL25rocblas_symm_scale_kernelILi128ELi8EfPKPfEviiT1_T2_llli.numbered_sgpr, 16
	.set _ZL25rocblas_symm_scale_kernelILi128ELi8EfPKPfEviiT1_T2_llli.num_named_barrier, 0
	.set _ZL25rocblas_symm_scale_kernelILi128ELi8EfPKPfEviiT1_T2_llli.private_seg_size, 0
	.set _ZL25rocblas_symm_scale_kernelILi128ELi8EfPKPfEviiT1_T2_llli.uses_vcc, 1
	.set _ZL25rocblas_symm_scale_kernelILi128ELi8EfPKPfEviiT1_T2_llli.uses_flat_scratch, 0
	.set _ZL25rocblas_symm_scale_kernelILi128ELi8EfPKPfEviiT1_T2_llli.has_dyn_sized_stack, 0
	.set _ZL25rocblas_symm_scale_kernelILi128ELi8EfPKPfEviiT1_T2_llli.has_recursion, 0
	.set _ZL25rocblas_symm_scale_kernelILi128ELi8EfPKPfEviiT1_T2_llli.has_indirect_call, 0
	.section	.AMDGPU.csdata,"",@progbits
; Kernel info:
; codeLenInByte = 344
; TotalNumSgprs: 22
; NumVgprs: 8
; NumAgprs: 0
; TotalNumVgprs: 8
; ScratchSize: 0
; MemoryBound: 0
; FloatMode: 240
; IeeeMode: 1
; LDSByteSize: 0 bytes/workgroup (compile time only)
; SGPRBlocks: 2
; VGPRBlocks: 0
; NumSGPRsForWavesPerEU: 22
; NumVGPRsForWavesPerEU: 8
; AccumOffset: 8
; Occupancy: 8
; WaveLimiterHint : 0
; COMPUTE_PGM_RSRC2:SCRATCH_EN: 0
; COMPUTE_PGM_RSRC2:USER_SGPR: 2
; COMPUTE_PGM_RSRC2:TRAP_HANDLER: 0
; COMPUTE_PGM_RSRC2:TGID_X_EN: 1
; COMPUTE_PGM_RSRC2:TGID_Y_EN: 1
; COMPUTE_PGM_RSRC2:TGID_Z_EN: 1
; COMPUTE_PGM_RSRC2:TIDIG_COMP_CNT: 1
; COMPUTE_PGM_RSRC3_GFX90A:ACCUM_OFFSET: 1
; COMPUTE_PGM_RSRC3_GFX90A:TG_SPLIT: 0
	.section	.text._ZL24rocblas_symm_hemm_kernelILb0ELb0ELi32EfPKPKfPKPfEvbiiT2_T3_lllS8_lllT4_llli,"axG",@progbits,_ZL24rocblas_symm_hemm_kernelILb0ELb0ELi32EfPKPKfPKPfEvbiiT2_T3_lllS8_lllT4_llli,comdat
	.globl	_ZL24rocblas_symm_hemm_kernelILb0ELb0ELi32EfPKPKfPKPfEvbiiT2_T3_lllS8_lllT4_llli ; -- Begin function _ZL24rocblas_symm_hemm_kernelILb0ELb0ELi32EfPKPKfPKPfEvbiiT2_T3_lllS8_lllT4_llli
	.p2align	8
	.type	_ZL24rocblas_symm_hemm_kernelILb0ELb0ELi32EfPKPKfPKPfEvbiiT2_T3_lllS8_lllT4_llli,@function
_ZL24rocblas_symm_hemm_kernelILb0ELb0ELi32EfPKPKfPKPfEvbiiT2_T3_lllS8_lllT4_llli: ; @_ZL24rocblas_symm_hemm_kernelILb0ELb0ELi32EfPKPKfPKPfEvbiiT2_T3_lllS8_lllT4_llli
; %bb.0:
	s_load_dwordx4 s[12:15], s[0:1], 0x0
	s_waitcnt lgkmcnt(0)
	v_cmp_eq_f32_e64 s[6:7], s15, 0
	s_and_b64 vcc, exec, s[6:7]
	s_cbranch_vccnz .LBB36_13
; %bb.1:
	s_add_i32 s5, s14, -1
	s_ashr_i32 s6, s5, 31
	s_lshr_b32 s6, s6, 27
	s_add_i32 s5, s5, s6
	s_ashr_i32 s28, s5, 5
	s_cmp_gt_i32 s3, s28
	s_cbranch_scc1 .LBB36_13
; %bb.2:
	s_load_dwordx4 s[20:23], s[0:1], 0x10
	s_load_dwordx2 s[10:11], s[0:1], 0x20
	s_mov_b32 s5, 0
	s_lshl_b64 s[8:9], s[4:5], 3
	v_and_b32_e32 v10, 0x3ff, v0
	s_waitcnt lgkmcnt(0)
	s_add_u32 s20, s20, s8
	s_addc_u32 s21, s21, s9
	s_load_dwordx2 s[30:31], s[20:21], 0x0
	s_load_dwordx4 s[4:7], s[0:1], 0x30
	s_load_dwordx2 s[16:17], s[0:1], 0x40
	s_load_dwordx2 s[18:19], s[0:1], 0x60
	s_load_dwordx4 s[24:27], s[0:1], 0x50
	s_lshl_b64 s[20:21], s[22:23], 2
	s_waitcnt lgkmcnt(0)
	s_add_u32 s20, s30, s20
	s_addc_u32 s21, s31, s21
	s_add_u32 s4, s4, s8
	s_addc_u32 s5, s5, s9
	s_load_dwordx2 s[4:5], s[4:5], 0x0
	s_lshl_b64 s[6:7], s[6:7], 2
	v_bfe_u32 v11, v0, 10, 10
	v_lshl_add_u32 v0, s2, 5, v10
	s_load_dword s2, s[0:1], 0x7c
	s_waitcnt lgkmcnt(0)
	s_add_u32 s22, s4, s6
	s_addc_u32 s23, s5, s7
	s_add_u32 s4, s24, s8
	s_addc_u32 s5, s25, s9
	s_load_dwordx2 s[4:5], s[4:5], 0x0
	s_bitcmp1_b32 s12, 0
	s_cselect_b64 s[6:7], -1, 0
	s_lshl_b64 s[8:9], s[26:27], 2
	v_lshlrev_b32_e32 v12, 7, v10
	s_waitcnt lgkmcnt(0)
	s_add_u32 s4, s4, s8
	s_addc_u32 s5, s5, s9
	s_cmp_gt_i32 s13, 0
	v_lshlrev_b32_e32 v1, 2, v11
	v_add_u32_e32 v13, v12, v1
	v_or_b32_e32 v14, 0x1000, v1
	v_ashrrev_i32_e32 v1, 31, v0
	s_cselect_b64 s[0:1], -1, 0
	v_lshl_add_u64 v[2:3], v[0:1], 2, s[4:5]
	v_cndmask_b32_e64 v1, 0, 1, s[0:1]
	v_add_u32_e32 v15, v14, v12
	v_cmp_gt_i32_e64 s[8:9], s13, v0
	v_cmp_ne_u32_e64 s[4:5], 1, v1
	v_add_u32_e32 v1, 0x400, v14
	v_add_u32_e32 v16, 0x800, v14
	;; [unrolled: 1-line block ×3, first 2 shown]
	s_branch .LBB36_4
.LBB36_3:                               ;   in Loop: Header=BB36_4 Depth=1
	s_add_i32 s3, s3, s2
	s_cmp_gt_i32 s3, s28
	s_cbranch_scc1 .LBB36_13
.LBB36_4:                               ; =>This Loop Header: Depth=1
                                        ;     Child Loop BB36_7 Depth 2
	s_and_b64 vcc, exec, s[4:5]
	s_cbranch_vccnz .LBB36_3
; %bb.5:                                ;   in Loop: Header=BB36_4 Depth=1
	v_lshl_add_u32 v6, s3, 5, v11
	v_ashrrev_i32_e32 v7, 31, v6
	v_mul_lo_u32 v8, s16, v7
	v_mul_lo_u32 v9, s17, v6
	v_mad_u64_u32 v[4:5], s[0:1], s16, v6, 0
	v_cmp_gt_i32_e32 vcc, s14, v6
	v_add3_u32 v5, v5, v8, v9
	v_mul_lo_u32 v8, s18, v7
	v_mul_lo_u32 v9, s19, v6
	v_mad_u64_u32 v[6:7], s[0:1], s18, v6, 0
	v_add3_u32 v7, v7, v8, v9
	v_lshl_add_u64 v[4:5], v[4:5], 2, s[22:23]
	s_and_b64 s[24:25], s[8:9], vcc
	v_lshl_add_u64 v[6:7], v[6:7], 2, v[2:3]
	s_mov_b32 s12, 0
	s_branch .LBB36_7
.LBB36_6:                               ;   in Loop: Header=BB36_7 Depth=2
	s_or_b64 exec, exec, s[0:1]
	s_add_i32 s12, s12, 32
	s_cmp_ge_i32 s12, s13
	s_waitcnt lgkmcnt(0)
	s_barrier
	s_cbranch_scc1 .LBB36_3
.LBB36_7:                               ;   Parent Loop BB36_4 Depth=1
                                        ; =>  This Inner Loop Header: Depth=2
	v_add_u32_e32 v9, s12, v11
	v_cndmask_b32_e64 v8, v9, v0, s[6:7]
	v_cndmask_b32_e64 v18, v0, v9, s[6:7]
	v_cmp_gt_i32_e64 s[0:1], v8, v18
	v_mov_b32_e32 v19, 0
	s_nop 0
	v_cndmask_b32_e64 v8, v0, v9, s[0:1]
	v_cndmask_b32_e64 v9, v9, v0, s[0:1]
	v_max_i32_e32 v18, v8, v9
	v_cmp_gt_i32_e64 s[0:1], s13, v18
	v_mov_b32_e32 v18, 0
	s_and_saveexec_b64 s[26:27], s[0:1]
	s_cbranch_execz .LBB36_9
; %bb.8:                                ;   in Loop: Header=BB36_7 Depth=2
	v_ashrrev_i32_e32 v19, 31, v9
	v_mul_lo_u32 v22, s11, v9
	v_mul_lo_u32 v19, s10, v19
	v_mad_u64_u32 v[20:21], s[0:1], s10, v9, 0
	v_add3_u32 v21, v21, v19, v22
	v_ashrrev_i32_e32 v9, 31, v8
	v_lshl_add_u64 v[20:21], v[20:21], 2, s[20:21]
	v_lshl_add_u64 v[8:9], v[8:9], 2, v[20:21]
	flat_load_dword v19, v[8:9]
.LBB36_9:                               ;   in Loop: Header=BB36_7 Depth=2
	s_or_b64 exec, exec, s[26:27]
	v_add_u32_e32 v8, s12, v10
	v_cmp_gt_i32_e64 s[0:1], s13, v8
	s_and_b64 s[26:27], s[0:1], vcc
	s_waitcnt vmcnt(0) lgkmcnt(0)
	ds_write_b32 v13, v19
	s_and_saveexec_b64 s[0:1], s[26:27]
	s_cbranch_execz .LBB36_11
; %bb.10:                               ;   in Loop: Header=BB36_7 Depth=2
	v_ashrrev_i32_e32 v9, 31, v8
	v_lshl_add_u64 v[8:9], v[8:9], 2, v[4:5]
	flat_load_dword v18, v[8:9]
.LBB36_11:                              ;   in Loop: Header=BB36_7 Depth=2
	s_or_b64 exec, exec, s[0:1]
	s_waitcnt vmcnt(0) lgkmcnt(0)
	ds_write_b32 v15, v18
	s_waitcnt lgkmcnt(0)
	s_barrier
	s_and_saveexec_b64 s[0:1], s[24:25]
	s_cbranch_execz .LBB36_6
; %bb.12:                               ;   in Loop: Header=BB36_7 Depth=2
	flat_load_dword v38, v[6:7]
	ds_read2_b32 v[8:9], v14 offset1:32
	ds_read_b128 v[18:21], v12
	ds_read_b128 v[22:25], v12 offset:16
	ds_read2_b32 v[34:35], v14 offset0:64 offset1:96
	ds_read_b128 v[26:29], v12 offset:32
	ds_read_b128 v[30:33], v12 offset:48
	ds_read2_b32 v[36:37], v14 offset0:128 offset1:160
	s_waitcnt lgkmcnt(0)
	v_fma_f32 v39, v18, v8, 0
	v_fmac_f32_e32 v39, v19, v9
	ds_read2_b32 v[8:9], v14 offset0:192 offset1:224
	v_fmac_f32_e32 v39, v20, v34
	v_fmac_f32_e32 v39, v21, v35
	ds_read2_b32 v[18:19], v1 offset1:32
	v_fmac_f32_e32 v39, v22, v36
	v_fmac_f32_e32 v39, v23, v37
	ds_read2_b32 v[20:21], v1 offset0:64 offset1:96
	s_waitcnt lgkmcnt(0)
	v_fmac_f32_e32 v39, v24, v8
	v_fmac_f32_e32 v39, v25, v9
	ds_read2_b32 v[8:9], v1 offset0:128 offset1:160
	v_fmac_f32_e32 v39, v26, v18
	v_fmac_f32_e32 v39, v27, v19
	;; [unrolled: 1-line block ×3, first 2 shown]
	ds_read2_b32 v[22:23], v1 offset0:192 offset1:224
	v_fmac_f32_e32 v39, v29, v21
	s_waitcnt lgkmcnt(0)
	v_fmac_f32_e32 v39, v30, v8
	v_fmac_f32_e32 v39, v31, v9
	ds_read_b128 v[18:21], v12 offset:64
	ds_read2_b32 v[8:9], v16 offset1:32
	v_fmac_f32_e32 v39, v32, v22
	v_fmac_f32_e32 v39, v33, v23
	ds_read2_b32 v[26:27], v16 offset0:64 offset1:96
	ds_read_b128 v[22:25], v12 offset:80
	ds_read2_b32 v[28:29], v16 offset0:128 offset1:160
	s_waitcnt lgkmcnt(0)
	v_fmac_f32_e32 v39, v18, v8
	v_fmac_f32_e32 v39, v19, v9
	ds_read2_b32 v[8:9], v16 offset0:192 offset1:224
	v_fmac_f32_e32 v39, v20, v26
	v_fmac_f32_e32 v39, v21, v27
	ds_read2_b32 v[26:27], v17 offset1:32
	ds_read_b128 v[18:21], v12 offset:96
	v_fmac_f32_e32 v39, v22, v28
	v_fmac_f32_e32 v39, v23, v29
	s_waitcnt lgkmcnt(0)
	v_pk_mul_f32 v[8:9], v[24:25], v[8:9]
	v_pk_mul_f32 v[18:19], v[18:19], v[26:27]
	v_add_f32_e32 v8, v39, v8
	v_add_f32_e32 v28, v8, v9
	ds_read2_b32 v[8:9], v17 offset0:64 offset1:96
	ds_read_b128 v[22:25], v12 offset:112
	v_add_f32_e32 v18, v28, v18
	v_add_f32_e32 v26, v18, v19
	ds_read2_b32 v[18:19], v17 offset0:128 offset1:160
	s_waitcnt lgkmcnt(0)
	v_pk_mul_f32 v[8:9], v[20:21], v[8:9]
	ds_read2_b32 v[20:21], v17 offset0:192 offset1:224
	v_add_f32_e32 v8, v26, v8
	v_add_f32_e32 v26, v8, v9
	v_pk_mul_f32 v[8:9], v[22:23], v[18:19]
	s_nop 0
	v_add_f32_e32 v8, v26, v8
	v_add_f32_e32 v18, v8, v9
	s_waitcnt lgkmcnt(0)
	v_pk_mul_f32 v[8:9], v[24:25], v[20:21]
	s_nop 0
	v_add_f32_e32 v8, v18, v8
	v_add_f32_e32 v8, v8, v9
	s_waitcnt vmcnt(0)
	v_fmac_f32_e32 v38, s15, v8
	flat_store_dword v[6:7], v38
	s_branch .LBB36_6
.LBB36_13:
	s_endpgm
	.section	.rodata,"a",@progbits
	.p2align	6, 0x0
	.amdhsa_kernel _ZL24rocblas_symm_hemm_kernelILb0ELb0ELi32EfPKPKfPKPfEvbiiT2_T3_lllS8_lllT4_llli
		.amdhsa_group_segment_fixed_size 8192
		.amdhsa_private_segment_fixed_size 0
		.amdhsa_kernarg_size 376
		.amdhsa_user_sgpr_count 2
		.amdhsa_user_sgpr_dispatch_ptr 0
		.amdhsa_user_sgpr_queue_ptr 0
		.amdhsa_user_sgpr_kernarg_segment_ptr 1
		.amdhsa_user_sgpr_dispatch_id 0
		.amdhsa_user_sgpr_kernarg_preload_length 0
		.amdhsa_user_sgpr_kernarg_preload_offset 0
		.amdhsa_user_sgpr_private_segment_size 0
		.amdhsa_uses_dynamic_stack 0
		.amdhsa_enable_private_segment 0
		.amdhsa_system_sgpr_workgroup_id_x 1
		.amdhsa_system_sgpr_workgroup_id_y 1
		.amdhsa_system_sgpr_workgroup_id_z 1
		.amdhsa_system_sgpr_workgroup_info 0
		.amdhsa_system_vgpr_workitem_id 1
		.amdhsa_next_free_vgpr 40
		.amdhsa_next_free_sgpr 32
		.amdhsa_accum_offset 40
		.amdhsa_reserve_vcc 1
		.amdhsa_float_round_mode_32 0
		.amdhsa_float_round_mode_16_64 0
		.amdhsa_float_denorm_mode_32 3
		.amdhsa_float_denorm_mode_16_64 3
		.amdhsa_dx10_clamp 1
		.amdhsa_ieee_mode 1
		.amdhsa_fp16_overflow 0
		.amdhsa_tg_split 0
		.amdhsa_exception_fp_ieee_invalid_op 0
		.amdhsa_exception_fp_denorm_src 0
		.amdhsa_exception_fp_ieee_div_zero 0
		.amdhsa_exception_fp_ieee_overflow 0
		.amdhsa_exception_fp_ieee_underflow 0
		.amdhsa_exception_fp_ieee_inexact 0
		.amdhsa_exception_int_div_zero 0
	.end_amdhsa_kernel
	.section	.text._ZL24rocblas_symm_hemm_kernelILb0ELb0ELi32EfPKPKfPKPfEvbiiT2_T3_lllS8_lllT4_llli,"axG",@progbits,_ZL24rocblas_symm_hemm_kernelILb0ELb0ELi32EfPKPKfPKPfEvbiiT2_T3_lllS8_lllT4_llli,comdat
.Lfunc_end36:
	.size	_ZL24rocblas_symm_hemm_kernelILb0ELb0ELi32EfPKPKfPKPfEvbiiT2_T3_lllS8_lllT4_llli, .Lfunc_end36-_ZL24rocblas_symm_hemm_kernelILb0ELb0ELi32EfPKPKfPKPfEvbiiT2_T3_lllS8_lllT4_llli
                                        ; -- End function
	.set _ZL24rocblas_symm_hemm_kernelILb0ELb0ELi32EfPKPKfPKPfEvbiiT2_T3_lllS8_lllT4_llli.num_vgpr, 40
	.set _ZL24rocblas_symm_hemm_kernelILb0ELb0ELi32EfPKPKfPKPfEvbiiT2_T3_lllS8_lllT4_llli.num_agpr, 0
	.set _ZL24rocblas_symm_hemm_kernelILb0ELb0ELi32EfPKPKfPKPfEvbiiT2_T3_lllS8_lllT4_llli.numbered_sgpr, 32
	.set _ZL24rocblas_symm_hemm_kernelILb0ELb0ELi32EfPKPKfPKPfEvbiiT2_T3_lllS8_lllT4_llli.num_named_barrier, 0
	.set _ZL24rocblas_symm_hemm_kernelILb0ELb0ELi32EfPKPKfPKPfEvbiiT2_T3_lllS8_lllT4_llli.private_seg_size, 0
	.set _ZL24rocblas_symm_hemm_kernelILb0ELb0ELi32EfPKPKfPKPfEvbiiT2_T3_lllS8_lllT4_llli.uses_vcc, 1
	.set _ZL24rocblas_symm_hemm_kernelILb0ELb0ELi32EfPKPKfPKPfEvbiiT2_T3_lllS8_lllT4_llli.uses_flat_scratch, 0
	.set _ZL24rocblas_symm_hemm_kernelILb0ELb0ELi32EfPKPKfPKPfEvbiiT2_T3_lllS8_lllT4_llli.has_dyn_sized_stack, 0
	.set _ZL24rocblas_symm_hemm_kernelILb0ELb0ELi32EfPKPKfPKPfEvbiiT2_T3_lllS8_lllT4_llli.has_recursion, 0
	.set _ZL24rocblas_symm_hemm_kernelILb0ELb0ELi32EfPKPKfPKPfEvbiiT2_T3_lllS8_lllT4_llli.has_indirect_call, 0
	.section	.AMDGPU.csdata,"",@progbits
; Kernel info:
; codeLenInByte = 1164
; TotalNumSgprs: 38
; NumVgprs: 40
; NumAgprs: 0
; TotalNumVgprs: 40
; ScratchSize: 0
; MemoryBound: 0
; FloatMode: 240
; IeeeMode: 1
; LDSByteSize: 8192 bytes/workgroup (compile time only)
; SGPRBlocks: 4
; VGPRBlocks: 4
; NumSGPRsForWavesPerEU: 38
; NumVGPRsForWavesPerEU: 40
; AccumOffset: 40
; Occupancy: 8
; WaveLimiterHint : 1
; COMPUTE_PGM_RSRC2:SCRATCH_EN: 0
; COMPUTE_PGM_RSRC2:USER_SGPR: 2
; COMPUTE_PGM_RSRC2:TRAP_HANDLER: 0
; COMPUTE_PGM_RSRC2:TGID_X_EN: 1
; COMPUTE_PGM_RSRC2:TGID_Y_EN: 1
; COMPUTE_PGM_RSRC2:TGID_Z_EN: 1
; COMPUTE_PGM_RSRC2:TIDIG_COMP_CNT: 1
; COMPUTE_PGM_RSRC3_GFX90A:ACCUM_OFFSET: 9
; COMPUTE_PGM_RSRC3_GFX90A:TG_SPLIT: 0
	.section	.text._ZL24rocblas_symm_hemm_kernelILb0ELb1ELi32EfPKPKfPKPfEvbiiT2_T3_lllS8_lllT4_llli,"axG",@progbits,_ZL24rocblas_symm_hemm_kernelILb0ELb1ELi32EfPKPKfPKPfEvbiiT2_T3_lllS8_lllT4_llli,comdat
	.globl	_ZL24rocblas_symm_hemm_kernelILb0ELb1ELi32EfPKPKfPKPfEvbiiT2_T3_lllS8_lllT4_llli ; -- Begin function _ZL24rocblas_symm_hemm_kernelILb0ELb1ELi32EfPKPKfPKPfEvbiiT2_T3_lllS8_lllT4_llli
	.p2align	8
	.type	_ZL24rocblas_symm_hemm_kernelILb0ELb1ELi32EfPKPKfPKPfEvbiiT2_T3_lllS8_lllT4_llli,@function
_ZL24rocblas_symm_hemm_kernelILb0ELb1ELi32EfPKPKfPKPfEvbiiT2_T3_lllS8_lllT4_llli: ; @_ZL24rocblas_symm_hemm_kernelILb0ELb1ELi32EfPKPKfPKPfEvbiiT2_T3_lllS8_lllT4_llli
; %bb.0:
	s_load_dwordx4 s[8:11], s[0:1], 0x0
	s_waitcnt lgkmcnt(0)
	v_cmp_eq_f32_e64 s[6:7], s11, 0
	s_and_b64 vcc, exec, s[6:7]
	s_cbranch_vccnz .LBB37_13
; %bb.1:
	s_add_i32 s5, s10, -1
	s_ashr_i32 s6, s5, 31
	s_lshr_b32 s6, s6, 27
	s_add_i32 s5, s5, s6
	s_ashr_i32 s22, s5, 5
	s_cmp_gt_i32 s3, s22
	s_cbranch_scc1 .LBB37_13
; %bb.2:
	s_load_dwordx4 s[16:19], s[0:1], 0x10
	s_load_dwordx2 s[12:13], s[0:1], 0x20
	s_mov_b32 s5, 0
	s_lshl_b64 s[4:5], s[4:5], 3
	v_and_b32_e32 v8, 0x3ff, v0
	s_waitcnt lgkmcnt(0)
	s_add_u32 s6, s16, s4
	s_addc_u32 s7, s17, s5
	s_load_dwordx2 s[20:21], s[6:7], 0x0
	s_load_dwordx4 s[24:27], s[0:1], 0x30
	s_load_dwordx2 s[14:15], s[0:1], 0x40
	s_load_dwordx2 s[16:17], s[0:1], 0x60
	s_load_dwordx4 s[28:31], s[0:1], 0x50
	s_lshl_b64 s[6:7], s[18:19], 2
	s_waitcnt lgkmcnt(0)
	s_add_u32 s18, s20, s6
	s_addc_u32 s19, s21, s7
	s_add_u32 s6, s24, s4
	s_addc_u32 s7, s25, s5
	;; [unrolled: 2-line block ×3, first 2 shown]
	s_load_dwordx2 s[20:21], s[4:5], 0x0
	s_load_dwordx2 s[24:25], s[6:7], 0x0
	s_bitcmp1_b32 s8, 0
	s_cselect_b64 s[6:7], -1, 0
	s_lshl_b64 s[4:5], s[30:31], 2
	s_waitcnt lgkmcnt(0)
	s_add_u32 s4, s20, s4
	s_addc_u32 s5, s21, s5
	s_lshl_b64 s[20:21], s[26:27], 2
	s_add_u32 s20, s24, s20
	s_addc_u32 s21, s25, s21
	v_lshl_add_u32 v2, s2, 5, v8
	s_load_dword s2, s[0:1], 0x7c
	v_bfe_u32 v9, v0, 10, 10
	s_cmp_gt_i32 s10, 0
	v_ashrrev_i32_e32 v3, 31, v2
	v_lshlrev_b32_e32 v10, 7, v8
	v_lshlrev_b32_e32 v4, 2, v9
	s_cselect_b64 s[0:1], -1, 0
	v_cmp_gt_i32_e64 s[8:9], s9, v2
	v_lshlrev_b64 v[2:3], 2, v[2:3]
	v_add_u32_e32 v11, v10, v4
	v_or_b32_e32 v12, 0x1000, v4
	v_cndmask_b32_e64 v4, 0, 1, s[0:1]
	v_lshl_add_u64 v[0:1], s[20:21], 0, v[2:3]
	v_add_u32_e32 v13, v12, v10
	v_lshl_add_u64 v[2:3], s[4:5], 0, v[2:3]
	v_cmp_ne_u32_e64 s[4:5], 1, v4
	v_add_u32_e32 v14, 0x400, v12
	v_add_u32_e32 v15, 0x800, v12
	;; [unrolled: 1-line block ×3, first 2 shown]
	s_branch .LBB37_4
.LBB37_3:                               ;   in Loop: Header=BB37_4 Depth=1
	s_waitcnt lgkmcnt(0)
	s_add_i32 s3, s3, s2
	s_cmp_gt_i32 s3, s22
	s_cbranch_scc1 .LBB37_13
.LBB37_4:                               ; =>This Loop Header: Depth=1
                                        ;     Child Loop BB37_7 Depth 2
	s_and_b64 vcc, exec, s[4:5]
	s_cbranch_vccnz .LBB37_3
; %bb.5:                                ;   in Loop: Header=BB37_4 Depth=1
	v_lshl_add_u32 v17, s3, 5, v9
	v_ashrrev_i32_e32 v4, 31, v17
	v_mul_lo_u32 v6, s16, v4
	v_mul_lo_u32 v7, s17, v17
	v_mad_u64_u32 v[4:5], s[20:21], s16, v17, 0
	v_cmp_gt_i32_e32 vcc, s10, v17
	v_add3_u32 v5, v5, v6, v7
	s_and_b64 s[0:1], s[8:9], vcc
	v_lshl_add_u64 v[4:5], v[4:5], 2, v[2:3]
	s_mov_b32 s23, 0
	s_branch .LBB37_7
.LBB37_6:                               ;   in Loop: Header=BB37_7 Depth=2
	s_or_b64 exec, exec, s[20:21]
	s_add_i32 s23, s23, 32
	s_cmp_ge_i32 s23, s10
	s_waitcnt lgkmcnt(0)
	s_barrier
	s_cbranch_scc1 .LBB37_3
.LBB37_7:                               ;   Parent Loop BB37_4 Depth=1
                                        ; =>  This Inner Loop Header: Depth=2
	v_add_u32_e32 v6, s23, v9
	v_cmp_gt_i32_e32 vcc, s10, v6
	s_and_b64 s[24:25], s[8:9], vcc
	v_mov_b32_e32 v7, 0
	v_mov_b32_e32 v18, 0
	s_and_saveexec_b64 s[20:21], s[24:25]
	s_cbranch_execz .LBB37_9
; %bb.8:                                ;   in Loop: Header=BB37_7 Depth=2
	v_ashrrev_i32_e32 v18, 31, v6
	v_mul_lo_u32 v20, s15, v6
	v_mul_lo_u32 v21, s14, v18
	v_mad_u64_u32 v[18:19], s[24:25], s14, v6, 0
	v_add3_u32 v19, v19, v21, v20
	v_lshl_add_u64 v[18:19], v[18:19], 2, v[0:1]
	flat_load_dword v18, v[18:19]
.LBB37_9:                               ;   in Loop: Header=BB37_7 Depth=2
	s_or_b64 exec, exec, s[20:21]
	s_waitcnt vmcnt(0) lgkmcnt(0)
	ds_write_b32 v11, v18
	v_add_u32_e32 v18, s23, v8
	v_cndmask_b32_e64 v6, v17, v18, s[6:7]
	v_cndmask_b32_e64 v19, v18, v17, s[6:7]
	v_cmp_gt_i32_e32 vcc, v6, v19
	s_nop 1
	v_cndmask_b32_e32 v6, v18, v17, vcc
	v_cndmask_b32_e32 v18, v17, v18, vcc
	v_max_i32_e32 v19, v6, v18
	v_cmp_gt_i32_e32 vcc, s10, v19
	s_and_saveexec_b64 s[20:21], vcc
	s_cbranch_execz .LBB37_11
; %bb.10:                               ;   in Loop: Header=BB37_7 Depth=2
	v_ashrrev_i32_e32 v7, 31, v18
	v_mul_lo_u32 v20, s13, v18
	v_mul_lo_u32 v7, s12, v7
	v_mad_u64_u32 v[18:19], s[24:25], s12, v18, 0
	v_add3_u32 v19, v19, v7, v20
	v_ashrrev_i32_e32 v7, 31, v6
	v_lshl_add_u64 v[18:19], v[18:19], 2, s[18:19]
	v_lshl_add_u64 v[6:7], v[6:7], 2, v[18:19]
	flat_load_dword v7, v[6:7]
.LBB37_11:                              ;   in Loop: Header=BB37_7 Depth=2
	s_or_b64 exec, exec, s[20:21]
	s_waitcnt vmcnt(0) lgkmcnt(0)
	ds_write_b32 v13, v7
	s_waitcnt lgkmcnt(0)
	s_barrier
	s_and_saveexec_b64 s[20:21], s[0:1]
	s_cbranch_execz .LBB37_6
; %bb.12:                               ;   in Loop: Header=BB37_7 Depth=2
	flat_load_dword v38, v[4:5]
	ds_read2_b32 v[6:7], v12 offset1:32
	ds_read_b128 v[18:21], v10
	ds_read_b128 v[22:25], v10 offset:16
	ds_read2_b32 v[34:35], v12 offset0:64 offset1:96
	ds_read_b128 v[26:29], v10 offset:32
	ds_read_b128 v[30:33], v10 offset:48
	ds_read2_b32 v[36:37], v12 offset0:128 offset1:160
	s_waitcnt lgkmcnt(0)
	v_fma_f32 v39, v18, v6, 0
	v_fmac_f32_e32 v39, v19, v7
	ds_read2_b32 v[6:7], v12 offset0:192 offset1:224
	v_fmac_f32_e32 v39, v20, v34
	v_fmac_f32_e32 v39, v21, v35
	ds_read2_b32 v[18:19], v14 offset1:32
	v_fmac_f32_e32 v39, v22, v36
	v_fmac_f32_e32 v39, v23, v37
	ds_read2_b32 v[20:21], v14 offset0:64 offset1:96
	s_waitcnt lgkmcnt(0)
	v_fmac_f32_e32 v39, v24, v6
	v_fmac_f32_e32 v39, v25, v7
	ds_read2_b32 v[6:7], v14 offset0:128 offset1:160
	v_fmac_f32_e32 v39, v26, v18
	v_fmac_f32_e32 v39, v27, v19
	;; [unrolled: 1-line block ×3, first 2 shown]
	ds_read2_b32 v[22:23], v14 offset0:192 offset1:224
	v_fmac_f32_e32 v39, v29, v21
	s_waitcnt lgkmcnt(0)
	v_fmac_f32_e32 v39, v30, v6
	v_fmac_f32_e32 v39, v31, v7
	ds_read_b128 v[18:21], v10 offset:64
	ds_read2_b32 v[6:7], v15 offset1:32
	v_fmac_f32_e32 v39, v32, v22
	v_fmac_f32_e32 v39, v33, v23
	ds_read2_b32 v[26:27], v15 offset0:64 offset1:96
	ds_read_b128 v[22:25], v10 offset:80
	ds_read2_b32 v[28:29], v15 offset0:128 offset1:160
	s_waitcnt lgkmcnt(0)
	v_fmac_f32_e32 v39, v18, v6
	v_fmac_f32_e32 v39, v19, v7
	ds_read2_b32 v[6:7], v15 offset0:192 offset1:224
	v_fmac_f32_e32 v39, v20, v26
	v_fmac_f32_e32 v39, v21, v27
	ds_read2_b32 v[26:27], v16 offset1:32
	ds_read_b128 v[18:21], v10 offset:96
	v_fmac_f32_e32 v39, v22, v28
	v_fmac_f32_e32 v39, v23, v29
	s_waitcnt lgkmcnt(0)
	v_pk_mul_f32 v[6:7], v[24:25], v[6:7]
	v_pk_mul_f32 v[18:19], v[18:19], v[26:27]
	v_add_f32_e32 v6, v39, v6
	v_add_f32_e32 v28, v6, v7
	ds_read2_b32 v[6:7], v16 offset0:64 offset1:96
	ds_read_b128 v[22:25], v10 offset:112
	v_add_f32_e32 v18, v28, v18
	v_add_f32_e32 v26, v18, v19
	ds_read2_b32 v[18:19], v16 offset0:128 offset1:160
	s_waitcnt lgkmcnt(0)
	v_pk_mul_f32 v[6:7], v[20:21], v[6:7]
	ds_read2_b32 v[20:21], v16 offset0:192 offset1:224
	v_add_f32_e32 v6, v26, v6
	v_add_f32_e32 v26, v6, v7
	v_pk_mul_f32 v[6:7], v[22:23], v[18:19]
	s_nop 0
	v_add_f32_e32 v6, v26, v6
	v_add_f32_e32 v18, v6, v7
	s_waitcnt lgkmcnt(0)
	v_pk_mul_f32 v[6:7], v[24:25], v[20:21]
	s_nop 0
	v_add_f32_e32 v6, v18, v6
	v_add_f32_e32 v6, v6, v7
	s_waitcnt vmcnt(0)
	v_fmac_f32_e32 v38, s11, v6
	flat_store_dword v[4:5], v38
	s_branch .LBB37_6
.LBB37_13:
	s_endpgm
	.section	.rodata,"a",@progbits
	.p2align	6, 0x0
	.amdhsa_kernel _ZL24rocblas_symm_hemm_kernelILb0ELb1ELi32EfPKPKfPKPfEvbiiT2_T3_lllS8_lllT4_llli
		.amdhsa_group_segment_fixed_size 8192
		.amdhsa_private_segment_fixed_size 0
		.amdhsa_kernarg_size 376
		.amdhsa_user_sgpr_count 2
		.amdhsa_user_sgpr_dispatch_ptr 0
		.amdhsa_user_sgpr_queue_ptr 0
		.amdhsa_user_sgpr_kernarg_segment_ptr 1
		.amdhsa_user_sgpr_dispatch_id 0
		.amdhsa_user_sgpr_kernarg_preload_length 0
		.amdhsa_user_sgpr_kernarg_preload_offset 0
		.amdhsa_user_sgpr_private_segment_size 0
		.amdhsa_uses_dynamic_stack 0
		.amdhsa_enable_private_segment 0
		.amdhsa_system_sgpr_workgroup_id_x 1
		.amdhsa_system_sgpr_workgroup_id_y 1
		.amdhsa_system_sgpr_workgroup_id_z 1
		.amdhsa_system_sgpr_workgroup_info 0
		.amdhsa_system_vgpr_workitem_id 1
		.amdhsa_next_free_vgpr 40
		.amdhsa_next_free_sgpr 32
		.amdhsa_accum_offset 40
		.amdhsa_reserve_vcc 1
		.amdhsa_float_round_mode_32 0
		.amdhsa_float_round_mode_16_64 0
		.amdhsa_float_denorm_mode_32 3
		.amdhsa_float_denorm_mode_16_64 3
		.amdhsa_dx10_clamp 1
		.amdhsa_ieee_mode 1
		.amdhsa_fp16_overflow 0
		.amdhsa_tg_split 0
		.amdhsa_exception_fp_ieee_invalid_op 0
		.amdhsa_exception_fp_denorm_src 0
		.amdhsa_exception_fp_ieee_div_zero 0
		.amdhsa_exception_fp_ieee_overflow 0
		.amdhsa_exception_fp_ieee_underflow 0
		.amdhsa_exception_fp_ieee_inexact 0
		.amdhsa_exception_int_div_zero 0
	.end_amdhsa_kernel
	.section	.text._ZL24rocblas_symm_hemm_kernelILb0ELb1ELi32EfPKPKfPKPfEvbiiT2_T3_lllS8_lllT4_llli,"axG",@progbits,_ZL24rocblas_symm_hemm_kernelILb0ELb1ELi32EfPKPKfPKPfEvbiiT2_T3_lllS8_lllT4_llli,comdat
.Lfunc_end37:
	.size	_ZL24rocblas_symm_hemm_kernelILb0ELb1ELi32EfPKPKfPKPfEvbiiT2_T3_lllS8_lllT4_llli, .Lfunc_end37-_ZL24rocblas_symm_hemm_kernelILb0ELb1ELi32EfPKPKfPKPfEvbiiT2_T3_lllS8_lllT4_llli
                                        ; -- End function
	.set _ZL24rocblas_symm_hemm_kernelILb0ELb1ELi32EfPKPKfPKPfEvbiiT2_T3_lllS8_lllT4_llli.num_vgpr, 40
	.set _ZL24rocblas_symm_hemm_kernelILb0ELb1ELi32EfPKPKfPKPfEvbiiT2_T3_lllS8_lllT4_llli.num_agpr, 0
	.set _ZL24rocblas_symm_hemm_kernelILb0ELb1ELi32EfPKPKfPKPfEvbiiT2_T3_lllS8_lllT4_llli.numbered_sgpr, 32
	.set _ZL24rocblas_symm_hemm_kernelILb0ELb1ELi32EfPKPKfPKPfEvbiiT2_T3_lllS8_lllT4_llli.num_named_barrier, 0
	.set _ZL24rocblas_symm_hemm_kernelILb0ELb1ELi32EfPKPKfPKPfEvbiiT2_T3_lllS8_lllT4_llli.private_seg_size, 0
	.set _ZL24rocblas_symm_hemm_kernelILb0ELb1ELi32EfPKPKfPKPfEvbiiT2_T3_lllS8_lllT4_llli.uses_vcc, 1
	.set _ZL24rocblas_symm_hemm_kernelILb0ELb1ELi32EfPKPKfPKPfEvbiiT2_T3_lllS8_lllT4_llli.uses_flat_scratch, 0
	.set _ZL24rocblas_symm_hemm_kernelILb0ELb1ELi32EfPKPKfPKPfEvbiiT2_T3_lllS8_lllT4_llli.has_dyn_sized_stack, 0
	.set _ZL24rocblas_symm_hemm_kernelILb0ELb1ELi32EfPKPKfPKPfEvbiiT2_T3_lllS8_lllT4_llli.has_recursion, 0
	.set _ZL24rocblas_symm_hemm_kernelILb0ELb1ELi32EfPKPKfPKPfEvbiiT2_T3_lllS8_lllT4_llli.has_indirect_call, 0
	.section	.AMDGPU.csdata,"",@progbits
; Kernel info:
; codeLenInByte = 1152
; TotalNumSgprs: 38
; NumVgprs: 40
; NumAgprs: 0
; TotalNumVgprs: 40
; ScratchSize: 0
; MemoryBound: 0
; FloatMode: 240
; IeeeMode: 1
; LDSByteSize: 8192 bytes/workgroup (compile time only)
; SGPRBlocks: 4
; VGPRBlocks: 4
; NumSGPRsForWavesPerEU: 38
; NumVGPRsForWavesPerEU: 40
; AccumOffset: 40
; Occupancy: 8
; WaveLimiterHint : 1
; COMPUTE_PGM_RSRC2:SCRATCH_EN: 0
; COMPUTE_PGM_RSRC2:USER_SGPR: 2
; COMPUTE_PGM_RSRC2:TRAP_HANDLER: 0
; COMPUTE_PGM_RSRC2:TGID_X_EN: 1
; COMPUTE_PGM_RSRC2:TGID_Y_EN: 1
; COMPUTE_PGM_RSRC2:TGID_Z_EN: 1
; COMPUTE_PGM_RSRC2:TIDIG_COMP_CNT: 1
; COMPUTE_PGM_RSRC3_GFX90A:ACCUM_OFFSET: 9
; COMPUTE_PGM_RSRC3_GFX90A:TG_SPLIT: 0
	.section	.text._ZL25rocblas_symm_scale_kernelILi128ELi8EPKdPKPdEviiT1_T2_llli,"axG",@progbits,_ZL25rocblas_symm_scale_kernelILi128ELi8EPKdPKPdEviiT1_T2_llli,comdat
	.globl	_ZL25rocblas_symm_scale_kernelILi128ELi8EPKdPKPdEviiT1_T2_llli ; -- Begin function _ZL25rocblas_symm_scale_kernelILi128ELi8EPKdPKPdEviiT1_T2_llli
	.p2align	8
	.type	_ZL25rocblas_symm_scale_kernelILi128ELi8EPKdPKPdEviiT1_T2_llli,@function
_ZL25rocblas_symm_scale_kernelILi128ELi8EPKdPKPdEviiT1_T2_llli: ; @_ZL25rocblas_symm_scale_kernelILi128ELi8EPKdPKPdEviiT1_T2_llli
; %bb.0:
	s_load_dwordx8 s[8:15], s[0:1], 0x8
	s_waitcnt lgkmcnt(0)
	s_load_dwordx2 s[6:7], s[8:9], 0x0
	s_waitcnt lgkmcnt(0)
	v_cmp_eq_f64_e64 s[8:9], s[6:7], 1.0
	s_and_b64 vcc, exec, s[8:9]
	s_cbranch_vccnz .LBB38_7
; %bb.1:
	s_load_dwordx2 s[16:17], s[0:1], 0x0
	v_and_b32_e32 v1, 0x3ff, v0
	v_bfe_u32 v0, v0, 10, 10
	v_lshl_add_u32 v2, s2, 7, v1
	v_lshl_add_u32 v0, s3, 3, v0
	v_mov_b32_e32 v1, 0
	s_waitcnt lgkmcnt(0)
	s_ashr_i32 s9, s17, 31
	s_mov_b32 s8, s17
	v_cmp_gt_u32_e32 vcc, s16, v2
	v_cmp_gt_i64_e64 s[2:3], s[8:9], v[0:1]
	s_and_b64 s[2:3], vcc, s[2:3]
	s_and_saveexec_b64 s[16:17], s[2:3]
	s_cbranch_execz .LBB38_7
; %bb.2:
	s_mov_b32 s5, 0
	s_lshl_b64 s[2:3], s[4:5], 3
	s_add_u32 s2, s10, s2
	s_load_dword s4, s[0:1], 0x3c
	s_addc_u32 s3, s11, s3
	v_mad_u64_u32 v[4:5], s[10:11], s14, v0, 0
	s_load_dwordx2 s[0:1], s[2:3], 0x0
	v_mov_b32_e32 v6, v5
	v_mad_u64_u32 v[6:7], s[10:11], s15, v0, v[6:7]
	v_mov_b32_e32 v5, v6
	s_lshl_b64 s[10:11], s[12:13], 3
	v_mov_b32_e32 v3, v1
	v_lshl_add_u64 v[4:5], v[4:5], 3, s[10:11]
	s_waitcnt lgkmcnt(0)
	s_lshl_b32 s4, s4, 3
	v_lshl_add_u64 v[2:3], v[2:3], 3, v[4:5]
	v_lshl_add_u64 v[2:3], s[0:1], 0, v[2:3]
	s_mul_i32 s0, s15, s4
	s_mul_hi_u32 s1, s14, s4
	s_add_i32 s1, s1, s0
	s_mul_i32 s0, s14, s4
	s_lshl_b64 s[10:11], s[0:1], 3
	v_cmp_neq_f64_e64 s[0:1], s[6:7], 0
	s_mov_b64 s[2:3], 0
	s_nop 0
	v_cndmask_b32_e64 v4, 0, 1, s[0:1]
	v_cmp_ne_u32_e64 s[0:1], 1, v4
	s_branch .LBB38_5
.LBB38_3:                               ;   in Loop: Header=BB38_5 Depth=1
	flat_load_dwordx2 v[4:5], v[2:3]
	s_waitcnt vmcnt(0) lgkmcnt(0)
	v_mul_f64 v[4:5], s[6:7], v[4:5]
.LBB38_4:                               ;   in Loop: Header=BB38_5 Depth=1
	v_lshl_add_u64 v[0:1], v[0:1], 0, s[4:5]
	v_cmp_le_i64_e32 vcc, s[8:9], v[0:1]
	flat_store_dwordx2 v[2:3], v[4:5]
	s_or_b64 s[2:3], vcc, s[2:3]
	v_lshl_add_u64 v[2:3], v[2:3], 0, s[10:11]
	s_andn2_b64 exec, exec, s[2:3]
	s_cbranch_execz .LBB38_7
.LBB38_5:                               ; =>This Inner Loop Header: Depth=1
	s_and_b64 vcc, exec, s[0:1]
	s_cbranch_vccz .LBB38_3
; %bb.6:                                ;   in Loop: Header=BB38_5 Depth=1
	v_mov_b64_e32 v[4:5], 0
	s_branch .LBB38_4
.LBB38_7:
	s_endpgm
	.section	.rodata,"a",@progbits
	.p2align	6, 0x0
	.amdhsa_kernel _ZL25rocblas_symm_scale_kernelILi128ELi8EPKdPKPdEviiT1_T2_llli
		.amdhsa_group_segment_fixed_size 0
		.amdhsa_private_segment_fixed_size 0
		.amdhsa_kernarg_size 312
		.amdhsa_user_sgpr_count 2
		.amdhsa_user_sgpr_dispatch_ptr 0
		.amdhsa_user_sgpr_queue_ptr 0
		.amdhsa_user_sgpr_kernarg_segment_ptr 1
		.amdhsa_user_sgpr_dispatch_id 0
		.amdhsa_user_sgpr_kernarg_preload_length 0
		.amdhsa_user_sgpr_kernarg_preload_offset 0
		.amdhsa_user_sgpr_private_segment_size 0
		.amdhsa_uses_dynamic_stack 0
		.amdhsa_enable_private_segment 0
		.amdhsa_system_sgpr_workgroup_id_x 1
		.amdhsa_system_sgpr_workgroup_id_y 1
		.amdhsa_system_sgpr_workgroup_id_z 1
		.amdhsa_system_sgpr_workgroup_info 0
		.amdhsa_system_vgpr_workitem_id 1
		.amdhsa_next_free_vgpr 8
		.amdhsa_next_free_sgpr 18
		.amdhsa_accum_offset 8
		.amdhsa_reserve_vcc 1
		.amdhsa_float_round_mode_32 0
		.amdhsa_float_round_mode_16_64 0
		.amdhsa_float_denorm_mode_32 3
		.amdhsa_float_denorm_mode_16_64 3
		.amdhsa_dx10_clamp 1
		.amdhsa_ieee_mode 1
		.amdhsa_fp16_overflow 0
		.amdhsa_tg_split 0
		.amdhsa_exception_fp_ieee_invalid_op 0
		.amdhsa_exception_fp_denorm_src 0
		.amdhsa_exception_fp_ieee_div_zero 0
		.amdhsa_exception_fp_ieee_overflow 0
		.amdhsa_exception_fp_ieee_underflow 0
		.amdhsa_exception_fp_ieee_inexact 0
		.amdhsa_exception_int_div_zero 0
	.end_amdhsa_kernel
	.section	.text._ZL25rocblas_symm_scale_kernelILi128ELi8EPKdPKPdEviiT1_T2_llli,"axG",@progbits,_ZL25rocblas_symm_scale_kernelILi128ELi8EPKdPKPdEviiT1_T2_llli,comdat
.Lfunc_end38:
	.size	_ZL25rocblas_symm_scale_kernelILi128ELi8EPKdPKPdEviiT1_T2_llli, .Lfunc_end38-_ZL25rocblas_symm_scale_kernelILi128ELi8EPKdPKPdEviiT1_T2_llli
                                        ; -- End function
	.set _ZL25rocblas_symm_scale_kernelILi128ELi8EPKdPKPdEviiT1_T2_llli.num_vgpr, 8
	.set _ZL25rocblas_symm_scale_kernelILi128ELi8EPKdPKPdEviiT1_T2_llli.num_agpr, 0
	.set _ZL25rocblas_symm_scale_kernelILi128ELi8EPKdPKPdEviiT1_T2_llli.numbered_sgpr, 18
	.set _ZL25rocblas_symm_scale_kernelILi128ELi8EPKdPKPdEviiT1_T2_llli.num_named_barrier, 0
	.set _ZL25rocblas_symm_scale_kernelILi128ELi8EPKdPKPdEviiT1_T2_llli.private_seg_size, 0
	.set _ZL25rocblas_symm_scale_kernelILi128ELi8EPKdPKPdEviiT1_T2_llli.uses_vcc, 1
	.set _ZL25rocblas_symm_scale_kernelILi128ELi8EPKdPKPdEviiT1_T2_llli.uses_flat_scratch, 0
	.set _ZL25rocblas_symm_scale_kernelILi128ELi8EPKdPKPdEviiT1_T2_llli.has_dyn_sized_stack, 0
	.set _ZL25rocblas_symm_scale_kernelILi128ELi8EPKdPKPdEviiT1_T2_llli.has_recursion, 0
	.set _ZL25rocblas_symm_scale_kernelILi128ELi8EPKdPKPdEviiT1_T2_llli.has_indirect_call, 0
	.section	.AMDGPU.csdata,"",@progbits
; Kernel info:
; codeLenInByte = 352
; TotalNumSgprs: 24
; NumVgprs: 8
; NumAgprs: 0
; TotalNumVgprs: 8
; ScratchSize: 0
; MemoryBound: 1
; FloatMode: 240
; IeeeMode: 1
; LDSByteSize: 0 bytes/workgroup (compile time only)
; SGPRBlocks: 2
; VGPRBlocks: 0
; NumSGPRsForWavesPerEU: 24
; NumVGPRsForWavesPerEU: 8
; AccumOffset: 8
; Occupancy: 8
; WaveLimiterHint : 0
; COMPUTE_PGM_RSRC2:SCRATCH_EN: 0
; COMPUTE_PGM_RSRC2:USER_SGPR: 2
; COMPUTE_PGM_RSRC2:TRAP_HANDLER: 0
; COMPUTE_PGM_RSRC2:TGID_X_EN: 1
; COMPUTE_PGM_RSRC2:TGID_Y_EN: 1
; COMPUTE_PGM_RSRC2:TGID_Z_EN: 1
; COMPUTE_PGM_RSRC2:TIDIG_COMP_CNT: 1
; COMPUTE_PGM_RSRC3_GFX90A:ACCUM_OFFSET: 1
; COMPUTE_PGM_RSRC3_GFX90A:TG_SPLIT: 0
	.section	.text._ZL24rocblas_symm_hemm_kernelILb0ELb0ELi32EPKdPKS1_PKPdEvbiiT2_T3_lllS8_lllT4_llli,"axG",@progbits,_ZL24rocblas_symm_hemm_kernelILb0ELb0ELi32EPKdPKS1_PKPdEvbiiT2_T3_lllS8_lllT4_llli,comdat
	.globl	_ZL24rocblas_symm_hemm_kernelILb0ELb0ELi32EPKdPKS1_PKPdEvbiiT2_T3_lllS8_lllT4_llli ; -- Begin function _ZL24rocblas_symm_hemm_kernelILb0ELb0ELi32EPKdPKS1_PKPdEvbiiT2_T3_lllS8_lllT4_llli
	.p2align	8
	.type	_ZL24rocblas_symm_hemm_kernelILb0ELb0ELi32EPKdPKS1_PKPdEvbiiT2_T3_lllS8_lllT4_llli,@function
_ZL24rocblas_symm_hemm_kernelILb0ELb0ELi32EPKdPKS1_PKPdEvbiiT2_T3_lllS8_lllT4_llli: ; @_ZL24rocblas_symm_hemm_kernelILb0ELb0ELi32EPKdPKS1_PKPdEvbiiT2_T3_lllS8_lllT4_llli
; %bb.0:
	s_load_dwordx8 s[8:15], s[0:1], 0x10
	s_waitcnt lgkmcnt(0)
	s_load_dwordx2 s[20:21], s[8:9], 0x0
	s_waitcnt lgkmcnt(0)
	v_cmp_eq_f64_e64 s[6:7], s[20:21], 0
	s_and_b64 vcc, exec, s[6:7]
	s_cbranch_vccnz .LBB39_13
; %bb.1:
	s_load_dwordx4 s[16:19], s[0:1], 0x0
	s_waitcnt lgkmcnt(0)
	s_add_i32 s5, s18, -1
	s_ashr_i32 s6, s5, 31
	s_lshr_b32 s6, s6, 27
	s_add_i32 s5, s5, s6
	s_ashr_i32 s19, s5, 5
	s_cmp_gt_i32 s3, s19
	s_cbranch_scc1 .LBB39_13
; %bb.2:
	s_mov_b32 s5, 0
	s_lshl_b64 s[8:9], s[4:5], 3
	s_add_u32 s22, s10, s8
	s_addc_u32 s23, s11, s9
	s_load_dwordx2 s[24:25], s[22:23], 0x0
	s_load_dwordx4 s[4:7], s[0:1], 0x38
	s_load_dwordx2 s[10:11], s[0:1], 0x48
	s_lshl_b64 s[12:13], s[12:13], 3
	v_and_b32_e32 v14, 0x3ff, v0
	s_waitcnt lgkmcnt(0)
	s_add_u32 s12, s24, s12
	s_addc_u32 s13, s25, s13
	s_add_u32 s4, s4, s8
	s_addc_u32 s5, s5, s9
	s_load_dwordx2 s[24:25], s[4:5], 0x0
	s_load_dwordx4 s[28:31], s[0:1], 0x58
	s_load_dwordx2 s[22:23], s[0:1], 0x68
	s_lshl_b64 s[4:5], s[6:7], 3
	v_bfe_u32 v15, v0, 10, 10
	s_waitcnt lgkmcnt(0)
	s_add_u32 s24, s24, s4
	s_addc_u32 s25, s25, s5
	s_add_u32 s4, s28, s8
	s_addc_u32 s5, s29, s9
	s_load_dwordx2 s[4:5], s[4:5], 0x0
	s_bitcmp1_b32 s16, 0
	s_cselect_b64 s[6:7], -1, 0
	s_lshl_b64 s[8:9], s[30:31], 3
	v_lshl_add_u32 v0, s2, 5, v14
	s_waitcnt lgkmcnt(0)
	s_add_u32 s4, s4, s8
	s_addc_u32 s5, s5, s9
	s_load_dword s2, s[0:1], 0x84
	s_cmp_gt_i32 s17, 0
	v_lshlrev_b32_e32 v16, 8, v14
	v_lshlrev_b32_e32 v1, 3, v15
	v_add_u32_e32 v17, v16, v1
	v_or_b32_e32 v18, 0x2000, v1
	v_ashrrev_i32_e32 v1, 31, v0
	s_cselect_b64 s[0:1], -1, 0
	v_lshl_add_u64 v[2:3], v[0:1], 3, s[4:5]
	v_cndmask_b32_e64 v1, 0, 1, s[0:1]
	v_add_u32_e32 v19, v18, v16
	v_cmp_gt_i32_e64 s[8:9], s17, v0
	v_cmp_ne_u32_e64 s[4:5], 1, v1
	v_add_u32_e32 v1, 0x800, v18
	v_add_u32_e32 v20, 0x1000, v18
	;; [unrolled: 1-line block ×3, first 2 shown]
	s_branch .LBB39_4
.LBB39_3:                               ;   in Loop: Header=BB39_4 Depth=1
	s_waitcnt lgkmcnt(0)
	s_add_i32 s3, s3, s2
	s_cmp_gt_i32 s3, s19
	s_cbranch_scc1 .LBB39_13
.LBB39_4:                               ; =>This Loop Header: Depth=1
                                        ;     Child Loop BB39_7 Depth 2
	s_and_b64 vcc, exec, s[4:5]
	s_cbranch_vccnz .LBB39_3
; %bb.5:                                ;   in Loop: Header=BB39_4 Depth=1
	v_lshl_add_u32 v6, s3, 5, v15
	v_ashrrev_i32_e32 v7, 31, v6
	v_mul_lo_u32 v8, s10, v7
	v_mul_lo_u32 v9, s11, v6
	v_mad_u64_u32 v[4:5], s[0:1], s10, v6, 0
	v_cmp_gt_i32_e32 vcc, s18, v6
	v_add3_u32 v5, v5, v8, v9
	v_mul_lo_u32 v8, s22, v7
	v_mul_lo_u32 v9, s23, v6
	v_mad_u64_u32 v[6:7], s[0:1], s22, v6, 0
	v_add3_u32 v7, v7, v8, v9
	v_lshl_add_u64 v[4:5], v[4:5], 3, s[24:25]
	s_and_b64 s[26:27], s[8:9], vcc
	v_lshl_add_u64 v[6:7], v[6:7], 3, v[2:3]
	s_mov_b32 s16, 0
	s_branch .LBB39_7
.LBB39_6:                               ;   in Loop: Header=BB39_7 Depth=2
	s_or_b64 exec, exec, s[0:1]
	s_add_i32 s16, s16, 32
	s_cmp_ge_i32 s16, s17
	s_waitcnt lgkmcnt(0)
	s_barrier
	s_cbranch_scc1 .LBB39_3
.LBB39_7:                               ;   Parent Loop BB39_4 Depth=1
                                        ; =>  This Inner Loop Header: Depth=2
	v_add_u32_e32 v8, s16, v15
	v_cndmask_b32_e64 v9, v8, v0, s[6:7]
	v_cndmask_b32_e64 v10, v0, v8, s[6:7]
	v_cmp_gt_i32_e64 s[0:1], v9, v10
	v_mov_b64_e32 v[12:13], 0
	s_nop 0
	v_cndmask_b32_e64 v10, v0, v8, s[0:1]
	v_cndmask_b32_e64 v11, v8, v0, s[0:1]
	v_max_i32_e32 v8, v10, v11
	v_cmp_gt_i32_e64 s[0:1], s17, v8
	v_mov_b64_e32 v[8:9], 0
	s_and_saveexec_b64 s[28:29], s[0:1]
	s_cbranch_execz .LBB39_9
; %bb.8:                                ;   in Loop: Header=BB39_7 Depth=2
	v_ashrrev_i32_e32 v12, 31, v11
	v_mul_lo_u32 v22, s15, v11
	v_mul_lo_u32 v23, s14, v12
	v_mad_u64_u32 v[12:13], s[0:1], s14, v11, 0
	v_add3_u32 v13, v13, v23, v22
	v_ashrrev_i32_e32 v11, 31, v10
	v_lshl_add_u64 v[12:13], v[12:13], 3, s[12:13]
	v_lshl_add_u64 v[10:11], v[10:11], 3, v[12:13]
	flat_load_dwordx2 v[12:13], v[10:11]
.LBB39_9:                               ;   in Loop: Header=BB39_7 Depth=2
	s_or_b64 exec, exec, s[28:29]
	v_add_u32_e32 v10, s16, v14
	v_cmp_gt_i32_e64 s[0:1], s17, v10
	s_and_b64 s[28:29], s[0:1], vcc
	s_waitcnt vmcnt(0) lgkmcnt(0)
	ds_write_b64 v17, v[12:13]
	s_and_saveexec_b64 s[0:1], s[28:29]
	s_cbranch_execz .LBB39_11
; %bb.10:                               ;   in Loop: Header=BB39_7 Depth=2
	v_ashrrev_i32_e32 v11, 31, v10
	v_lshl_add_u64 v[8:9], v[10:11], 3, v[4:5]
	flat_load_dwordx2 v[8:9], v[8:9]
.LBB39_11:                              ;   in Loop: Header=BB39_7 Depth=2
	s_or_b64 exec, exec, s[0:1]
	s_waitcnt vmcnt(0) lgkmcnt(0)
	ds_write_b64 v19, v[8:9]
	s_waitcnt lgkmcnt(0)
	s_barrier
	s_and_saveexec_b64 s[0:1], s[26:27]
	s_cbranch_execz .LBB39_6
; %bb.12:                               ;   in Loop: Header=BB39_7 Depth=2
	flat_load_dwordx2 v[12:13], v[6:7]
	ds_read2_b64 v[8:11], v18 offset1:32
	ds_read_b128 v[22:25], v16
	ds_read_b128 v[26:29], v16 offset:16
	ds_read2_b64 v[30:33], v18 offset0:64 offset1:96
	ds_read_b128 v[34:37], v16 offset:32
	ds_read_b128 v[38:41], v16 offset:48
	ds_read2_b64 v[42:45], v18 offset0:128 offset1:160
	s_waitcnt lgkmcnt(0)
	v_fma_f64 v[46:47], v[22:23], v[8:9], 0
	v_fmac_f64_e32 v[46:47], v[24:25], v[10:11]
	ds_read2_b64 v[8:11], v18 offset0:192 offset1:224
	v_fmac_f64_e32 v[46:47], v[26:27], v[30:31]
	v_fmac_f64_e32 v[46:47], v[28:29], v[32:33]
	;; [unrolled: 1-line block ×4, first 2 shown]
	ds_read_b128 v[22:25], v16 offset:64
	ds_read2_b64 v[26:29], v1 offset1:32
	s_waitcnt lgkmcnt(0)
	v_fmac_f64_e32 v[46:47], v[38:39], v[8:9]
	v_fmac_f64_e32 v[46:47], v[40:41], v[10:11]
	ds_read_b128 v[8:11], v16 offset:80
	ds_read2_b64 v[30:33], v1 offset0:64 offset1:96
	v_fmac_f64_e32 v[46:47], v[22:23], v[26:27]
	v_fmac_f64_e32 v[46:47], v[24:25], v[28:29]
	ds_read_b128 v[22:25], v16 offset:96
	ds_read2_b64 v[26:29], v1 offset0:128 offset1:160
	s_waitcnt lgkmcnt(0)
	v_fmac_f64_e32 v[46:47], v[8:9], v[30:31]
	v_fmac_f64_e32 v[46:47], v[10:11], v[32:33]
	ds_read_b128 v[8:11], v16 offset:112
	ds_read2_b64 v[30:33], v1 offset0:192 offset1:224
	v_fmac_f64_e32 v[46:47], v[22:23], v[26:27]
	v_fmac_f64_e32 v[46:47], v[24:25], v[28:29]
	ds_read_b128 v[22:25], v16 offset:128
	ds_read2_b64 v[26:29], v20 offset1:32
	s_waitcnt lgkmcnt(0)
	v_fmac_f64_e32 v[46:47], v[8:9], v[30:31]
	v_fmac_f64_e32 v[46:47], v[10:11], v[32:33]
	ds_read_b128 v[8:11], v16 offset:144
	ds_read2_b64 v[30:33], v20 offset0:64 offset1:96
	v_fmac_f64_e32 v[46:47], v[22:23], v[26:27]
	v_fmac_f64_e32 v[46:47], v[24:25], v[28:29]
	ds_read_b128 v[22:25], v16 offset:160
	ds_read2_b64 v[26:29], v20 offset0:128 offset1:160
	s_waitcnt lgkmcnt(0)
	v_fmac_f64_e32 v[46:47], v[8:9], v[30:31]
	v_fmac_f64_e32 v[46:47], v[10:11], v[32:33]
	ds_read_b128 v[8:11], v16 offset:176
	ds_read2_b64 v[30:33], v20 offset0:192 offset1:224
	ds_read_b128 v[34:37], v16 offset:192
	ds_read2_b64 v[38:41], v21 offset1:32
	v_fmac_f64_e32 v[46:47], v[22:23], v[26:27]
	v_fmac_f64_e32 v[46:47], v[24:25], v[28:29]
	s_waitcnt lgkmcnt(0)
	v_fmac_f64_e32 v[46:47], v[8:9], v[30:31]
	v_fmac_f64_e32 v[46:47], v[10:11], v[32:33]
	ds_read_b128 v[8:11], v16 offset:208
	v_fmac_f64_e32 v[46:47], v[34:35], v[38:39]
	v_fmac_f64_e32 v[46:47], v[36:37], v[40:41]
	ds_read2_b64 v[22:25], v21 offset0:64 offset1:96
	ds_read2_b64 v[26:29], v21 offset0:128 offset1:160
	ds_read_b128 v[30:33], v16 offset:224
	ds_read_b128 v[34:37], v16 offset:240
	ds_read2_b64 v[38:41], v21 offset0:192 offset1:224
	s_waitcnt lgkmcnt(0)
	v_fmac_f64_e32 v[46:47], v[8:9], v[22:23]
	v_fmac_f64_e32 v[46:47], v[10:11], v[24:25]
	;; [unrolled: 1-line block ×6, first 2 shown]
	s_waitcnt vmcnt(0)
	v_fmac_f64_e32 v[12:13], s[20:21], v[46:47]
	flat_store_dwordx2 v[6:7], v[12:13]
	s_branch .LBB39_6
.LBB39_13:
	s_endpgm
	.section	.rodata,"a",@progbits
	.p2align	6, 0x0
	.amdhsa_kernel _ZL24rocblas_symm_hemm_kernelILb0ELb0ELi32EPKdPKS1_PKPdEvbiiT2_T3_lllS8_lllT4_llli
		.amdhsa_group_segment_fixed_size 16384
		.amdhsa_private_segment_fixed_size 0
		.amdhsa_kernarg_size 384
		.amdhsa_user_sgpr_count 2
		.amdhsa_user_sgpr_dispatch_ptr 0
		.amdhsa_user_sgpr_queue_ptr 0
		.amdhsa_user_sgpr_kernarg_segment_ptr 1
		.amdhsa_user_sgpr_dispatch_id 0
		.amdhsa_user_sgpr_kernarg_preload_length 0
		.amdhsa_user_sgpr_kernarg_preload_offset 0
		.amdhsa_user_sgpr_private_segment_size 0
		.amdhsa_uses_dynamic_stack 0
		.amdhsa_enable_private_segment 0
		.amdhsa_system_sgpr_workgroup_id_x 1
		.amdhsa_system_sgpr_workgroup_id_y 1
		.amdhsa_system_sgpr_workgroup_id_z 1
		.amdhsa_system_sgpr_workgroup_info 0
		.amdhsa_system_vgpr_workitem_id 1
		.amdhsa_next_free_vgpr 48
		.amdhsa_next_free_sgpr 32
		.amdhsa_accum_offset 48
		.amdhsa_reserve_vcc 1
		.amdhsa_float_round_mode_32 0
		.amdhsa_float_round_mode_16_64 0
		.amdhsa_float_denorm_mode_32 3
		.amdhsa_float_denorm_mode_16_64 3
		.amdhsa_dx10_clamp 1
		.amdhsa_ieee_mode 1
		.amdhsa_fp16_overflow 0
		.amdhsa_tg_split 0
		.amdhsa_exception_fp_ieee_invalid_op 0
		.amdhsa_exception_fp_denorm_src 0
		.amdhsa_exception_fp_ieee_div_zero 0
		.amdhsa_exception_fp_ieee_overflow 0
		.amdhsa_exception_fp_ieee_underflow 0
		.amdhsa_exception_fp_ieee_inexact 0
		.amdhsa_exception_int_div_zero 0
	.end_amdhsa_kernel
	.section	.text._ZL24rocblas_symm_hemm_kernelILb0ELb0ELi32EPKdPKS1_PKPdEvbiiT2_T3_lllS8_lllT4_llli,"axG",@progbits,_ZL24rocblas_symm_hemm_kernelILb0ELb0ELi32EPKdPKS1_PKPdEvbiiT2_T3_lllS8_lllT4_llli,comdat
.Lfunc_end39:
	.size	_ZL24rocblas_symm_hemm_kernelILb0ELb0ELi32EPKdPKS1_PKPdEvbiiT2_T3_lllS8_lllT4_llli, .Lfunc_end39-_ZL24rocblas_symm_hemm_kernelILb0ELb0ELi32EPKdPKS1_PKPdEvbiiT2_T3_lllS8_lllT4_llli
                                        ; -- End function
	.set _ZL24rocblas_symm_hemm_kernelILb0ELb0ELi32EPKdPKS1_PKPdEvbiiT2_T3_lllS8_lllT4_llli.num_vgpr, 48
	.set _ZL24rocblas_symm_hemm_kernelILb0ELb0ELi32EPKdPKS1_PKPdEvbiiT2_T3_lllS8_lllT4_llli.num_agpr, 0
	.set _ZL24rocblas_symm_hemm_kernelILb0ELb0ELi32EPKdPKS1_PKPdEvbiiT2_T3_lllS8_lllT4_llli.numbered_sgpr, 32
	.set _ZL24rocblas_symm_hemm_kernelILb0ELb0ELi32EPKdPKS1_PKPdEvbiiT2_T3_lllS8_lllT4_llli.num_named_barrier, 0
	.set _ZL24rocblas_symm_hemm_kernelILb0ELb0ELi32EPKdPKS1_PKPdEvbiiT2_T3_lllS8_lllT4_llli.private_seg_size, 0
	.set _ZL24rocblas_symm_hemm_kernelILb0ELb0ELi32EPKdPKS1_PKPdEvbiiT2_T3_lllS8_lllT4_llli.uses_vcc, 1
	.set _ZL24rocblas_symm_hemm_kernelILb0ELb0ELi32EPKdPKS1_PKPdEvbiiT2_T3_lllS8_lllT4_llli.uses_flat_scratch, 0
	.set _ZL24rocblas_symm_hemm_kernelILb0ELb0ELi32EPKdPKS1_PKPdEvbiiT2_T3_lllS8_lllT4_llli.has_dyn_sized_stack, 0
	.set _ZL24rocblas_symm_hemm_kernelILb0ELb0ELi32EPKdPKS1_PKPdEvbiiT2_T3_lllS8_lllT4_llli.has_recursion, 0
	.set _ZL24rocblas_symm_hemm_kernelILb0ELb0ELi32EPKdPKS1_PKPdEvbiiT2_T3_lllS8_lllT4_llli.has_indirect_call, 0
	.section	.AMDGPU.csdata,"",@progbits
; Kernel info:
; codeLenInByte = 1188
; TotalNumSgprs: 38
; NumVgprs: 48
; NumAgprs: 0
; TotalNumVgprs: 48
; ScratchSize: 0
; MemoryBound: 0
; FloatMode: 240
; IeeeMode: 1
; LDSByteSize: 16384 bytes/workgroup (compile time only)
; SGPRBlocks: 4
; VGPRBlocks: 5
; NumSGPRsForWavesPerEU: 38
; NumVGPRsForWavesPerEU: 48
; AccumOffset: 48
; Occupancy: 8
; WaveLimiterHint : 1
; COMPUTE_PGM_RSRC2:SCRATCH_EN: 0
; COMPUTE_PGM_RSRC2:USER_SGPR: 2
; COMPUTE_PGM_RSRC2:TRAP_HANDLER: 0
; COMPUTE_PGM_RSRC2:TGID_X_EN: 1
; COMPUTE_PGM_RSRC2:TGID_Y_EN: 1
; COMPUTE_PGM_RSRC2:TGID_Z_EN: 1
; COMPUTE_PGM_RSRC2:TIDIG_COMP_CNT: 1
; COMPUTE_PGM_RSRC3_GFX90A:ACCUM_OFFSET: 11
; COMPUTE_PGM_RSRC3_GFX90A:TG_SPLIT: 0
	.section	.text._ZL24rocblas_symm_hemm_kernelILb0ELb1ELi32EPKdPKS1_PKPdEvbiiT2_T3_lllS8_lllT4_llli,"axG",@progbits,_ZL24rocblas_symm_hemm_kernelILb0ELb1ELi32EPKdPKS1_PKPdEvbiiT2_T3_lllS8_lllT4_llli,comdat
	.globl	_ZL24rocblas_symm_hemm_kernelILb0ELb1ELi32EPKdPKS1_PKPdEvbiiT2_T3_lllS8_lllT4_llli ; -- Begin function _ZL24rocblas_symm_hemm_kernelILb0ELb1ELi32EPKdPKS1_PKPdEvbiiT2_T3_lllS8_lllT4_llli
	.p2align	8
	.type	_ZL24rocblas_symm_hemm_kernelILb0ELb1ELi32EPKdPKS1_PKPdEvbiiT2_T3_lllS8_lllT4_llli,@function
_ZL24rocblas_symm_hemm_kernelILb0ELb1ELi32EPKdPKS1_PKPdEvbiiT2_T3_lllS8_lllT4_llli: ; @_ZL24rocblas_symm_hemm_kernelILb0ELb1ELi32EPKdPKS1_PKPdEvbiiT2_T3_lllS8_lllT4_llli
; %bb.0:
	s_load_dwordx8 s[8:15], s[0:1], 0x10
	s_waitcnt lgkmcnt(0)
	s_load_dwordx2 s[20:21], s[8:9], 0x0
	s_waitcnt lgkmcnt(0)
	v_cmp_eq_f64_e64 s[6:7], s[20:21], 0
	s_and_b64 vcc, exec, s[6:7]
	s_cbranch_vccnz .LBB40_13
; %bb.1:
	s_load_dwordx4 s[16:19], s[0:1], 0x0
	s_waitcnt lgkmcnt(0)
	s_add_i32 s5, s18, -1
	s_ashr_i32 s6, s5, 31
	s_lshr_b32 s6, s6, 27
	s_add_i32 s5, s5, s6
	s_ashr_i32 s19, s5, 5
	s_cmp_gt_i32 s3, s19
	s_cbranch_scc1 .LBB40_13
; %bb.2:
	s_mov_b32 s5, 0
	s_lshl_b64 s[4:5], s[4:5], 3
	s_add_u32 s6, s10, s4
	s_addc_u32 s7, s11, s5
	s_load_dwordx2 s[8:9], s[6:7], 0x0
	s_load_dwordx4 s[24:27], s[0:1], 0x38
	s_load_dwordx2 s[10:11], s[0:1], 0x48
	s_load_dwordx4 s[28:31], s[0:1], 0x58
	s_load_dwordx2 s[22:23], s[0:1], 0x68
	s_lshl_b64 s[6:7], s[12:13], 3
	s_waitcnt lgkmcnt(0)
	s_add_u32 s12, s8, s6
	s_addc_u32 s13, s9, s7
	s_add_u32 s6, s24, s4
	s_addc_u32 s7, s25, s5
	;; [unrolled: 2-line block ×3, first 2 shown]
	s_load_dwordx2 s[8:9], s[4:5], 0x0
	s_load_dwordx2 s[24:25], s[6:7], 0x0
	s_bitcmp1_b32 s16, 0
	s_cselect_b64 s[6:7], -1, 0
	s_lshl_b64 s[4:5], s[30:31], 3
	s_waitcnt lgkmcnt(0)
	s_add_u32 s4, s8, s4
	s_addc_u32 s5, s9, s5
	s_lshl_b64 s[8:9], s[26:27], 3
	s_add_u32 s24, s24, s8
	v_and_b32_e32 v10, 0x3ff, v0
	s_addc_u32 s25, s25, s9
	v_lshl_add_u32 v2, s2, 5, v10
	s_load_dword s2, s[0:1], 0x84
	v_bfe_u32 v11, v0, 10, 10
	s_cmp_gt_i32 s18, 0
	v_ashrrev_i32_e32 v3, 31, v2
	v_lshlrev_b32_e32 v12, 8, v10
	v_lshlrev_b32_e32 v4, 3, v11
	s_cselect_b64 s[0:1], -1, 0
	v_cmp_gt_i32_e64 s[8:9], s17, v2
	v_lshlrev_b64 v[2:3], 3, v[2:3]
	v_add_u32_e32 v13, v12, v4
	v_or_b32_e32 v14, 0x2000, v4
	v_cndmask_b32_e64 v4, 0, 1, s[0:1]
	v_lshl_add_u64 v[0:1], s[24:25], 0, v[2:3]
	v_add_u32_e32 v15, v14, v12
	v_lshl_add_u64 v[2:3], s[4:5], 0, v[2:3]
	v_cmp_ne_u32_e64 s[4:5], 1, v4
	v_add_u32_e32 v16, 0x800, v14
	v_add_u32_e32 v17, 0x1000, v14
	;; [unrolled: 1-line block ×3, first 2 shown]
	s_branch .LBB40_4
.LBB40_3:                               ;   in Loop: Header=BB40_4 Depth=1
	s_waitcnt lgkmcnt(0)
	s_add_i32 s3, s3, s2
	s_cmp_gt_i32 s3, s19
	s_cbranch_scc1 .LBB40_13
.LBB40_4:                               ; =>This Loop Header: Depth=1
                                        ;     Child Loop BB40_7 Depth 2
	s_and_b64 vcc, exec, s[4:5]
	s_cbranch_vccnz .LBB40_3
; %bb.5:                                ;   in Loop: Header=BB40_4 Depth=1
	v_lshl_add_u32 v19, s3, 5, v11
	v_ashrrev_i32_e32 v4, 31, v19
	v_mul_lo_u32 v6, s22, v4
	v_mul_lo_u32 v7, s23, v19
	v_mad_u64_u32 v[4:5], s[16:17], s22, v19, 0
	v_cmp_gt_i32_e32 vcc, s18, v19
	v_add3_u32 v5, v5, v6, v7
	s_and_b64 s[0:1], s[8:9], vcc
	v_lshl_add_u64 v[4:5], v[4:5], 3, v[2:3]
	s_mov_b32 s24, 0
	s_branch .LBB40_7
.LBB40_6:                               ;   in Loop: Header=BB40_7 Depth=2
	s_or_b64 exec, exec, s[16:17]
	s_add_i32 s24, s24, 32
	s_cmp_ge_i32 s24, s18
	s_waitcnt lgkmcnt(0)
	s_barrier
	s_cbranch_scc1 .LBB40_3
.LBB40_7:                               ;   Parent Loop BB40_4 Depth=1
                                        ; =>  This Inner Loop Header: Depth=2
	v_add_u32_e32 v20, s24, v11
	v_cmp_gt_i32_e32 vcc, s18, v20
	s_and_b64 s[26:27], s[8:9], vcc
	v_mov_b64_e32 v[6:7], 0
	v_mov_b64_e32 v[8:9], 0
	s_and_saveexec_b64 s[16:17], s[26:27]
	s_cbranch_execz .LBB40_9
; %bb.8:                                ;   in Loop: Header=BB40_7 Depth=2
	v_ashrrev_i32_e32 v8, 31, v20
	v_mul_lo_u32 v21, s11, v20
	v_mul_lo_u32 v22, s10, v8
	v_mad_u64_u32 v[8:9], s[26:27], s10, v20, 0
	v_add3_u32 v9, v9, v22, v21
	v_lshl_add_u64 v[8:9], v[8:9], 3, v[0:1]
	flat_load_dwordx2 v[8:9], v[8:9]
.LBB40_9:                               ;   in Loop: Header=BB40_7 Depth=2
	s_or_b64 exec, exec, s[16:17]
	s_waitcnt vmcnt(0) lgkmcnt(0)
	ds_write_b64 v13, v[8:9]
	v_add_u32_e32 v9, s24, v10
	v_cndmask_b32_e64 v8, v19, v9, s[6:7]
	v_cndmask_b32_e64 v20, v9, v19, s[6:7]
	v_cmp_gt_i32_e32 vcc, v8, v20
	s_nop 1
	v_cndmask_b32_e32 v8, v9, v19, vcc
	v_cndmask_b32_e32 v9, v19, v9, vcc
	v_max_i32_e32 v20, v8, v9
	v_cmp_gt_i32_e32 vcc, s18, v20
	s_and_saveexec_b64 s[16:17], vcc
	s_cbranch_execz .LBB40_11
; %bb.10:                               ;   in Loop: Header=BB40_7 Depth=2
	v_ashrrev_i32_e32 v6, 31, v9
	v_mul_lo_u32 v20, s15, v9
	v_mul_lo_u32 v21, s14, v6
	v_mad_u64_u32 v[6:7], s[26:27], s14, v9, 0
	v_add3_u32 v7, v7, v21, v20
	v_ashrrev_i32_e32 v9, 31, v8
	v_lshl_add_u64 v[6:7], v[6:7], 3, s[12:13]
	v_lshl_add_u64 v[6:7], v[8:9], 3, v[6:7]
	flat_load_dwordx2 v[6:7], v[6:7]
.LBB40_11:                              ;   in Loop: Header=BB40_7 Depth=2
	s_or_b64 exec, exec, s[16:17]
	s_waitcnt vmcnt(0) lgkmcnt(0)
	ds_write_b64 v15, v[6:7]
	s_waitcnt lgkmcnt(0)
	s_barrier
	s_and_saveexec_b64 s[16:17], s[0:1]
	s_cbranch_execz .LBB40_6
; %bb.12:                               ;   in Loop: Header=BB40_7 Depth=2
	flat_load_dwordx2 v[44:45], v[4:5]
	ds_read2_b64 v[6:9], v14 offset1:32
	ds_read_b128 v[20:23], v12
	ds_read_b128 v[24:27], v12 offset:16
	ds_read2_b64 v[28:31], v14 offset0:64 offset1:96
	ds_read_b128 v[32:35], v12 offset:32
	ds_read_b128 v[36:39], v12 offset:48
	ds_read2_b64 v[40:43], v14 offset0:128 offset1:160
	s_waitcnt lgkmcnt(0)
	v_fma_f64 v[46:47], v[20:21], v[6:7], 0
	v_fmac_f64_e32 v[46:47], v[22:23], v[8:9]
	ds_read2_b64 v[6:9], v14 offset0:192 offset1:224
	v_fmac_f64_e32 v[46:47], v[24:25], v[28:29]
	v_fmac_f64_e32 v[46:47], v[26:27], v[30:31]
	;; [unrolled: 1-line block ×4, first 2 shown]
	ds_read_b128 v[20:23], v12 offset:64
	ds_read2_b64 v[24:27], v16 offset1:32
	s_waitcnt lgkmcnt(0)
	v_fmac_f64_e32 v[46:47], v[36:37], v[6:7]
	v_fmac_f64_e32 v[46:47], v[38:39], v[8:9]
	ds_read_b128 v[6:9], v12 offset:80
	ds_read2_b64 v[28:31], v16 offset0:64 offset1:96
	v_fmac_f64_e32 v[46:47], v[20:21], v[24:25]
	v_fmac_f64_e32 v[46:47], v[22:23], v[26:27]
	ds_read_b128 v[20:23], v12 offset:96
	ds_read2_b64 v[24:27], v16 offset0:128 offset1:160
	s_waitcnt lgkmcnt(0)
	v_fmac_f64_e32 v[46:47], v[6:7], v[28:29]
	v_fmac_f64_e32 v[46:47], v[8:9], v[30:31]
	ds_read_b128 v[6:9], v12 offset:112
	ds_read2_b64 v[28:31], v16 offset0:192 offset1:224
	v_fmac_f64_e32 v[46:47], v[20:21], v[24:25]
	v_fmac_f64_e32 v[46:47], v[22:23], v[26:27]
	ds_read_b128 v[20:23], v12 offset:128
	ds_read2_b64 v[24:27], v17 offset1:32
	s_waitcnt lgkmcnt(0)
	v_fmac_f64_e32 v[46:47], v[6:7], v[28:29]
	v_fmac_f64_e32 v[46:47], v[8:9], v[30:31]
	ds_read_b128 v[6:9], v12 offset:144
	ds_read2_b64 v[28:31], v17 offset0:64 offset1:96
	v_fmac_f64_e32 v[46:47], v[20:21], v[24:25]
	v_fmac_f64_e32 v[46:47], v[22:23], v[26:27]
	ds_read_b128 v[20:23], v12 offset:160
	ds_read2_b64 v[24:27], v17 offset0:128 offset1:160
	s_waitcnt lgkmcnt(0)
	v_fmac_f64_e32 v[46:47], v[6:7], v[28:29]
	v_fmac_f64_e32 v[46:47], v[8:9], v[30:31]
	ds_read_b128 v[6:9], v12 offset:176
	ds_read2_b64 v[28:31], v17 offset0:192 offset1:224
	ds_read_b128 v[32:35], v12 offset:192
	ds_read2_b64 v[36:39], v18 offset1:32
	v_fmac_f64_e32 v[46:47], v[20:21], v[24:25]
	v_fmac_f64_e32 v[46:47], v[22:23], v[26:27]
	s_waitcnt lgkmcnt(0)
	v_fmac_f64_e32 v[46:47], v[6:7], v[28:29]
	v_fmac_f64_e32 v[46:47], v[8:9], v[30:31]
	ds_read_b128 v[6:9], v12 offset:208
	v_fmac_f64_e32 v[46:47], v[32:33], v[36:37]
	v_fmac_f64_e32 v[46:47], v[34:35], v[38:39]
	ds_read2_b64 v[20:23], v18 offset0:64 offset1:96
	ds_read2_b64 v[24:27], v18 offset0:128 offset1:160
	ds_read_b128 v[28:31], v12 offset:224
	ds_read_b128 v[32:35], v12 offset:240
	ds_read2_b64 v[36:39], v18 offset0:192 offset1:224
	s_waitcnt lgkmcnt(0)
	v_fmac_f64_e32 v[46:47], v[6:7], v[20:21]
	v_fmac_f64_e32 v[46:47], v[8:9], v[22:23]
	v_fmac_f64_e32 v[46:47], v[28:29], v[24:25]
	v_fmac_f64_e32 v[46:47], v[30:31], v[26:27]
	v_fmac_f64_e32 v[46:47], v[32:33], v[36:37]
	v_fmac_f64_e32 v[46:47], v[34:35], v[38:39]
	s_waitcnt vmcnt(0)
	v_fmac_f64_e32 v[44:45], s[20:21], v[46:47]
	flat_store_dwordx2 v[4:5], v[44:45]
	s_branch .LBB40_6
.LBB40_13:
	s_endpgm
	.section	.rodata,"a",@progbits
	.p2align	6, 0x0
	.amdhsa_kernel _ZL24rocblas_symm_hemm_kernelILb0ELb1ELi32EPKdPKS1_PKPdEvbiiT2_T3_lllS8_lllT4_llli
		.amdhsa_group_segment_fixed_size 16384
		.amdhsa_private_segment_fixed_size 0
		.amdhsa_kernarg_size 384
		.amdhsa_user_sgpr_count 2
		.amdhsa_user_sgpr_dispatch_ptr 0
		.amdhsa_user_sgpr_queue_ptr 0
		.amdhsa_user_sgpr_kernarg_segment_ptr 1
		.amdhsa_user_sgpr_dispatch_id 0
		.amdhsa_user_sgpr_kernarg_preload_length 0
		.amdhsa_user_sgpr_kernarg_preload_offset 0
		.amdhsa_user_sgpr_private_segment_size 0
		.amdhsa_uses_dynamic_stack 0
		.amdhsa_enable_private_segment 0
		.amdhsa_system_sgpr_workgroup_id_x 1
		.amdhsa_system_sgpr_workgroup_id_y 1
		.amdhsa_system_sgpr_workgroup_id_z 1
		.amdhsa_system_sgpr_workgroup_info 0
		.amdhsa_system_vgpr_workitem_id 1
		.amdhsa_next_free_vgpr 48
		.amdhsa_next_free_sgpr 32
		.amdhsa_accum_offset 48
		.amdhsa_reserve_vcc 1
		.amdhsa_float_round_mode_32 0
		.amdhsa_float_round_mode_16_64 0
		.amdhsa_float_denorm_mode_32 3
		.amdhsa_float_denorm_mode_16_64 3
		.amdhsa_dx10_clamp 1
		.amdhsa_ieee_mode 1
		.amdhsa_fp16_overflow 0
		.amdhsa_tg_split 0
		.amdhsa_exception_fp_ieee_invalid_op 0
		.amdhsa_exception_fp_denorm_src 0
		.amdhsa_exception_fp_ieee_div_zero 0
		.amdhsa_exception_fp_ieee_overflow 0
		.amdhsa_exception_fp_ieee_underflow 0
		.amdhsa_exception_fp_ieee_inexact 0
		.amdhsa_exception_int_div_zero 0
	.end_amdhsa_kernel
	.section	.text._ZL24rocblas_symm_hemm_kernelILb0ELb1ELi32EPKdPKS1_PKPdEvbiiT2_T3_lllS8_lllT4_llli,"axG",@progbits,_ZL24rocblas_symm_hemm_kernelILb0ELb1ELi32EPKdPKS1_PKPdEvbiiT2_T3_lllS8_lllT4_llli,comdat
.Lfunc_end40:
	.size	_ZL24rocblas_symm_hemm_kernelILb0ELb1ELi32EPKdPKS1_PKPdEvbiiT2_T3_lllS8_lllT4_llli, .Lfunc_end40-_ZL24rocblas_symm_hemm_kernelILb0ELb1ELi32EPKdPKS1_PKPdEvbiiT2_T3_lllS8_lllT4_llli
                                        ; -- End function
	.set _ZL24rocblas_symm_hemm_kernelILb0ELb1ELi32EPKdPKS1_PKPdEvbiiT2_T3_lllS8_lllT4_llli.num_vgpr, 48
	.set _ZL24rocblas_symm_hemm_kernelILb0ELb1ELi32EPKdPKS1_PKPdEvbiiT2_T3_lllS8_lllT4_llli.num_agpr, 0
	.set _ZL24rocblas_symm_hemm_kernelILb0ELb1ELi32EPKdPKS1_PKPdEvbiiT2_T3_lllS8_lllT4_llli.numbered_sgpr, 32
	.set _ZL24rocblas_symm_hemm_kernelILb0ELb1ELi32EPKdPKS1_PKPdEvbiiT2_T3_lllS8_lllT4_llli.num_named_barrier, 0
	.set _ZL24rocblas_symm_hemm_kernelILb0ELb1ELi32EPKdPKS1_PKPdEvbiiT2_T3_lllS8_lllT4_llli.private_seg_size, 0
	.set _ZL24rocblas_symm_hemm_kernelILb0ELb1ELi32EPKdPKS1_PKPdEvbiiT2_T3_lllS8_lllT4_llli.uses_vcc, 1
	.set _ZL24rocblas_symm_hemm_kernelILb0ELb1ELi32EPKdPKS1_PKPdEvbiiT2_T3_lllS8_lllT4_llli.uses_flat_scratch, 0
	.set _ZL24rocblas_symm_hemm_kernelILb0ELb1ELi32EPKdPKS1_PKPdEvbiiT2_T3_lllS8_lllT4_llli.has_dyn_sized_stack, 0
	.set _ZL24rocblas_symm_hemm_kernelILb0ELb1ELi32EPKdPKS1_PKPdEvbiiT2_T3_lllS8_lllT4_llli.has_recursion, 0
	.set _ZL24rocblas_symm_hemm_kernelILb0ELb1ELi32EPKdPKS1_PKPdEvbiiT2_T3_lllS8_lllT4_llli.has_indirect_call, 0
	.section	.AMDGPU.csdata,"",@progbits
; Kernel info:
; codeLenInByte = 1172
; TotalNumSgprs: 38
; NumVgprs: 48
; NumAgprs: 0
; TotalNumVgprs: 48
; ScratchSize: 0
; MemoryBound: 0
; FloatMode: 240
; IeeeMode: 1
; LDSByteSize: 16384 bytes/workgroup (compile time only)
; SGPRBlocks: 4
; VGPRBlocks: 5
; NumSGPRsForWavesPerEU: 38
; NumVGPRsForWavesPerEU: 48
; AccumOffset: 48
; Occupancy: 8
; WaveLimiterHint : 1
; COMPUTE_PGM_RSRC2:SCRATCH_EN: 0
; COMPUTE_PGM_RSRC2:USER_SGPR: 2
; COMPUTE_PGM_RSRC2:TRAP_HANDLER: 0
; COMPUTE_PGM_RSRC2:TGID_X_EN: 1
; COMPUTE_PGM_RSRC2:TGID_Y_EN: 1
; COMPUTE_PGM_RSRC2:TGID_Z_EN: 1
; COMPUTE_PGM_RSRC2:TIDIG_COMP_CNT: 1
; COMPUTE_PGM_RSRC3_GFX90A:ACCUM_OFFSET: 11
; COMPUTE_PGM_RSRC3_GFX90A:TG_SPLIT: 0
	.section	.text._ZL25rocblas_symm_scale_kernelILi128ELi8EdPKPdEviiT1_T2_llli,"axG",@progbits,_ZL25rocblas_symm_scale_kernelILi128ELi8EdPKPdEviiT1_T2_llli,comdat
	.globl	_ZL25rocblas_symm_scale_kernelILi128ELi8EdPKPdEviiT1_T2_llli ; -- Begin function _ZL25rocblas_symm_scale_kernelILi128ELi8EdPKPdEviiT1_T2_llli
	.p2align	8
	.type	_ZL25rocblas_symm_scale_kernelILi128ELi8EdPKPdEviiT1_T2_llli,@function
_ZL25rocblas_symm_scale_kernelILi128ELi8EdPKPdEviiT1_T2_llli: ; @_ZL25rocblas_symm_scale_kernelILi128ELi8EdPKPdEviiT1_T2_llli
; %bb.0:
	s_load_dwordx8 s[8:15], s[0:1], 0x8
	s_waitcnt lgkmcnt(0)
	v_cmp_eq_f64_e64 s[6:7], s[8:9], 1.0
	s_and_b64 vcc, exec, s[6:7]
	s_cbranch_vccnz .LBB41_7
; %bb.1:
	s_load_dwordx2 s[16:17], s[0:1], 0x0
	v_and_b32_e32 v1, 0x3ff, v0
	v_bfe_u32 v0, v0, 10, 10
	v_lshl_add_u32 v2, s2, 7, v1
	v_lshl_add_u32 v0, s3, 3, v0
	v_mov_b32_e32 v1, 0
	s_waitcnt lgkmcnt(0)
	s_ashr_i32 s7, s17, 31
	s_mov_b32 s6, s17
	v_cmp_gt_u32_e32 vcc, s16, v2
	v_cmp_gt_i64_e64 s[2:3], s[6:7], v[0:1]
	s_and_b64 s[2:3], vcc, s[2:3]
	s_and_saveexec_b64 s[16:17], s[2:3]
	s_cbranch_execz .LBB41_7
; %bb.2:
	s_mov_b32 s5, 0
	s_lshl_b64 s[2:3], s[4:5], 3
	s_add_u32 s2, s10, s2
	s_load_dword s4, s[0:1], 0x3c
	s_addc_u32 s3, s11, s3
	v_mad_u64_u32 v[4:5], s[10:11], s14, v0, 0
	s_load_dwordx2 s[0:1], s[2:3], 0x0
	v_mov_b32_e32 v6, v5
	v_mad_u64_u32 v[6:7], s[10:11], s15, v0, v[6:7]
	v_mov_b32_e32 v5, v6
	s_lshl_b64 s[10:11], s[12:13], 3
	v_mov_b32_e32 v3, v1
	v_lshl_add_u64 v[4:5], v[4:5], 3, s[10:11]
	s_waitcnt lgkmcnt(0)
	s_lshl_b32 s4, s4, 3
	v_lshl_add_u64 v[2:3], v[2:3], 3, v[4:5]
	v_lshl_add_u64 v[2:3], s[0:1], 0, v[2:3]
	s_mul_i32 s0, s15, s4
	s_mul_hi_u32 s1, s14, s4
	s_add_i32 s1, s1, s0
	s_mul_i32 s0, s14, s4
	s_lshl_b64 s[10:11], s[0:1], 3
	v_cmp_neq_f64_e64 s[0:1], s[8:9], 0
	s_mov_b64 s[2:3], 0
	s_nop 0
	v_cndmask_b32_e64 v4, 0, 1, s[0:1]
	v_cmp_ne_u32_e64 s[0:1], 1, v4
	s_branch .LBB41_5
.LBB41_3:                               ;   in Loop: Header=BB41_5 Depth=1
	flat_load_dwordx2 v[4:5], v[2:3]
	s_waitcnt vmcnt(0) lgkmcnt(0)
	v_mul_f64 v[4:5], s[8:9], v[4:5]
.LBB41_4:                               ;   in Loop: Header=BB41_5 Depth=1
	v_lshl_add_u64 v[0:1], v[0:1], 0, s[4:5]
	v_cmp_le_i64_e32 vcc, s[6:7], v[0:1]
	flat_store_dwordx2 v[2:3], v[4:5]
	s_or_b64 s[2:3], vcc, s[2:3]
	v_lshl_add_u64 v[2:3], v[2:3], 0, s[10:11]
	s_andn2_b64 exec, exec, s[2:3]
	s_cbranch_execz .LBB41_7
.LBB41_5:                               ; =>This Inner Loop Header: Depth=1
	s_and_b64 vcc, exec, s[0:1]
	s_cbranch_vccz .LBB41_3
; %bb.6:                                ;   in Loop: Header=BB41_5 Depth=1
	v_mov_b64_e32 v[4:5], 0
	s_branch .LBB41_4
.LBB41_7:
	s_endpgm
	.section	.rodata,"a",@progbits
	.p2align	6, 0x0
	.amdhsa_kernel _ZL25rocblas_symm_scale_kernelILi128ELi8EdPKPdEviiT1_T2_llli
		.amdhsa_group_segment_fixed_size 0
		.amdhsa_private_segment_fixed_size 0
		.amdhsa_kernarg_size 312
		.amdhsa_user_sgpr_count 2
		.amdhsa_user_sgpr_dispatch_ptr 0
		.amdhsa_user_sgpr_queue_ptr 0
		.amdhsa_user_sgpr_kernarg_segment_ptr 1
		.amdhsa_user_sgpr_dispatch_id 0
		.amdhsa_user_sgpr_kernarg_preload_length 0
		.amdhsa_user_sgpr_kernarg_preload_offset 0
		.amdhsa_user_sgpr_private_segment_size 0
		.amdhsa_uses_dynamic_stack 0
		.amdhsa_enable_private_segment 0
		.amdhsa_system_sgpr_workgroup_id_x 1
		.amdhsa_system_sgpr_workgroup_id_y 1
		.amdhsa_system_sgpr_workgroup_id_z 1
		.amdhsa_system_sgpr_workgroup_info 0
		.amdhsa_system_vgpr_workitem_id 1
		.amdhsa_next_free_vgpr 8
		.amdhsa_next_free_sgpr 18
		.amdhsa_accum_offset 8
		.amdhsa_reserve_vcc 1
		.amdhsa_float_round_mode_32 0
		.amdhsa_float_round_mode_16_64 0
		.amdhsa_float_denorm_mode_32 3
		.amdhsa_float_denorm_mode_16_64 3
		.amdhsa_dx10_clamp 1
		.amdhsa_ieee_mode 1
		.amdhsa_fp16_overflow 0
		.amdhsa_tg_split 0
		.amdhsa_exception_fp_ieee_invalid_op 0
		.amdhsa_exception_fp_denorm_src 0
		.amdhsa_exception_fp_ieee_div_zero 0
		.amdhsa_exception_fp_ieee_overflow 0
		.amdhsa_exception_fp_ieee_underflow 0
		.amdhsa_exception_fp_ieee_inexact 0
		.amdhsa_exception_int_div_zero 0
	.end_amdhsa_kernel
	.section	.text._ZL25rocblas_symm_scale_kernelILi128ELi8EdPKPdEviiT1_T2_llli,"axG",@progbits,_ZL25rocblas_symm_scale_kernelILi128ELi8EdPKPdEviiT1_T2_llli,comdat
.Lfunc_end41:
	.size	_ZL25rocblas_symm_scale_kernelILi128ELi8EdPKPdEviiT1_T2_llli, .Lfunc_end41-_ZL25rocblas_symm_scale_kernelILi128ELi8EdPKPdEviiT1_T2_llli
                                        ; -- End function
	.set _ZL25rocblas_symm_scale_kernelILi128ELi8EdPKPdEviiT1_T2_llli.num_vgpr, 8
	.set _ZL25rocblas_symm_scale_kernelILi128ELi8EdPKPdEviiT1_T2_llli.num_agpr, 0
	.set _ZL25rocblas_symm_scale_kernelILi128ELi8EdPKPdEviiT1_T2_llli.numbered_sgpr, 18
	.set _ZL25rocblas_symm_scale_kernelILi128ELi8EdPKPdEviiT1_T2_llli.num_named_barrier, 0
	.set _ZL25rocblas_symm_scale_kernelILi128ELi8EdPKPdEviiT1_T2_llli.private_seg_size, 0
	.set _ZL25rocblas_symm_scale_kernelILi128ELi8EdPKPdEviiT1_T2_llli.uses_vcc, 1
	.set _ZL25rocblas_symm_scale_kernelILi128ELi8EdPKPdEviiT1_T2_llli.uses_flat_scratch, 0
	.set _ZL25rocblas_symm_scale_kernelILi128ELi8EdPKPdEviiT1_T2_llli.has_dyn_sized_stack, 0
	.set _ZL25rocblas_symm_scale_kernelILi128ELi8EdPKPdEviiT1_T2_llli.has_recursion, 0
	.set _ZL25rocblas_symm_scale_kernelILi128ELi8EdPKPdEviiT1_T2_llli.has_indirect_call, 0
	.section	.AMDGPU.csdata,"",@progbits
; Kernel info:
; codeLenInByte = 340
; TotalNumSgprs: 24
; NumVgprs: 8
; NumAgprs: 0
; TotalNumVgprs: 8
; ScratchSize: 0
; MemoryBound: 1
; FloatMode: 240
; IeeeMode: 1
; LDSByteSize: 0 bytes/workgroup (compile time only)
; SGPRBlocks: 2
; VGPRBlocks: 0
; NumSGPRsForWavesPerEU: 24
; NumVGPRsForWavesPerEU: 8
; AccumOffset: 8
; Occupancy: 8
; WaveLimiterHint : 0
; COMPUTE_PGM_RSRC2:SCRATCH_EN: 0
; COMPUTE_PGM_RSRC2:USER_SGPR: 2
; COMPUTE_PGM_RSRC2:TRAP_HANDLER: 0
; COMPUTE_PGM_RSRC2:TGID_X_EN: 1
; COMPUTE_PGM_RSRC2:TGID_Y_EN: 1
; COMPUTE_PGM_RSRC2:TGID_Z_EN: 1
; COMPUTE_PGM_RSRC2:TIDIG_COMP_CNT: 1
; COMPUTE_PGM_RSRC3_GFX90A:ACCUM_OFFSET: 1
; COMPUTE_PGM_RSRC3_GFX90A:TG_SPLIT: 0
	.section	.text._ZL24rocblas_symm_hemm_kernelILb0ELb0ELi32EdPKPKdPKPdEvbiiT2_T3_lllS8_lllT4_llli,"axG",@progbits,_ZL24rocblas_symm_hemm_kernelILb0ELb0ELi32EdPKPKdPKPdEvbiiT2_T3_lllS8_lllT4_llli,comdat
	.globl	_ZL24rocblas_symm_hemm_kernelILb0ELb0ELi32EdPKPKdPKPdEvbiiT2_T3_lllS8_lllT4_llli ; -- Begin function _ZL24rocblas_symm_hemm_kernelILb0ELb0ELi32EdPKPKdPKPdEvbiiT2_T3_lllS8_lllT4_llli
	.p2align	8
	.type	_ZL24rocblas_symm_hemm_kernelILb0ELb0ELi32EdPKPKdPKPdEvbiiT2_T3_lllS8_lllT4_llli,@function
_ZL24rocblas_symm_hemm_kernelILb0ELb0ELi32EdPKPKdPKPdEvbiiT2_T3_lllS8_lllT4_llli: ; @_ZL24rocblas_symm_hemm_kernelILb0ELb0ELi32EdPKPKdPKPdEvbiiT2_T3_lllS8_lllT4_llli
; %bb.0:
	s_load_dwordx8 s[12:19], s[0:1], 0x10
	s_waitcnt lgkmcnt(0)
	v_cmp_eq_f64_e64 s[6:7], s[12:13], 0
	s_and_b64 vcc, exec, s[6:7]
	s_cbranch_vccnz .LBB42_13
; %bb.1:
	s_load_dwordx4 s[20:23], s[0:1], 0x0
	s_waitcnt lgkmcnt(0)
	s_add_i32 s5, s22, -1
	s_ashr_i32 s6, s5, 31
	s_lshr_b32 s6, s6, 27
	s_add_i32 s5, s5, s6
	s_ashr_i32 s23, s5, 5
	s_cmp_gt_i32 s3, s23
	s_cbranch_scc1 .LBB42_13
; %bb.2:
	s_mov_b32 s5, 0
	s_lshl_b64 s[8:9], s[4:5], 3
	s_add_u32 s14, s14, s8
	s_addc_u32 s15, s15, s9
	s_load_dwordx2 s[24:25], s[14:15], 0x0
	s_load_dwordx4 s[4:7], s[0:1], 0x38
	s_load_dwordx2 s[10:11], s[0:1], 0x48
	s_lshl_b64 s[14:15], s[16:17], 3
	v_and_b32_e32 v14, 0x3ff, v0
	s_waitcnt lgkmcnt(0)
	s_add_u32 s14, s24, s14
	s_addc_u32 s15, s25, s15
	s_add_u32 s4, s4, s8
	s_addc_u32 s5, s5, s9
	s_load_dwordx2 s[24:25], s[4:5], 0x0
	s_load_dwordx4 s[28:31], s[0:1], 0x58
	s_load_dwordx2 s[16:17], s[0:1], 0x68
	s_lshl_b64 s[4:5], s[6:7], 3
	v_bfe_u32 v15, v0, 10, 10
	s_waitcnt lgkmcnt(0)
	s_add_u32 s24, s24, s4
	s_addc_u32 s25, s25, s5
	s_add_u32 s4, s28, s8
	s_addc_u32 s5, s29, s9
	s_load_dwordx2 s[4:5], s[4:5], 0x0
	s_bitcmp1_b32 s20, 0
	s_cselect_b64 s[6:7], -1, 0
	s_lshl_b64 s[8:9], s[30:31], 3
	v_lshl_add_u32 v0, s2, 5, v14
	s_waitcnt lgkmcnt(0)
	s_add_u32 s4, s4, s8
	s_addc_u32 s5, s5, s9
	s_load_dword s2, s[0:1], 0x84
	s_cmp_gt_i32 s21, 0
	v_lshlrev_b32_e32 v16, 8, v14
	v_lshlrev_b32_e32 v1, 3, v15
	v_add_u32_e32 v17, v16, v1
	v_or_b32_e32 v18, 0x2000, v1
	v_ashrrev_i32_e32 v1, 31, v0
	s_cselect_b64 s[0:1], -1, 0
	v_lshl_add_u64 v[2:3], v[0:1], 3, s[4:5]
	v_cndmask_b32_e64 v1, 0, 1, s[0:1]
	v_add_u32_e32 v19, v18, v16
	v_cmp_gt_i32_e64 s[8:9], s21, v0
	v_cmp_ne_u32_e64 s[4:5], 1, v1
	v_add_u32_e32 v1, 0x800, v18
	v_add_u32_e32 v20, 0x1000, v18
	;; [unrolled: 1-line block ×3, first 2 shown]
	s_branch .LBB42_4
.LBB42_3:                               ;   in Loop: Header=BB42_4 Depth=1
	s_waitcnt lgkmcnt(0)
	s_add_i32 s3, s3, s2
	s_cmp_gt_i32 s3, s23
	s_cbranch_scc1 .LBB42_13
.LBB42_4:                               ; =>This Loop Header: Depth=1
                                        ;     Child Loop BB42_7 Depth 2
	s_and_b64 vcc, exec, s[4:5]
	s_cbranch_vccnz .LBB42_3
; %bb.5:                                ;   in Loop: Header=BB42_4 Depth=1
	v_lshl_add_u32 v6, s3, 5, v15
	v_ashrrev_i32_e32 v7, 31, v6
	v_mul_lo_u32 v8, s10, v7
	v_mul_lo_u32 v9, s11, v6
	v_mad_u64_u32 v[4:5], s[0:1], s10, v6, 0
	v_cmp_gt_i32_e32 vcc, s22, v6
	v_add3_u32 v5, v5, v8, v9
	v_mul_lo_u32 v8, s16, v7
	v_mul_lo_u32 v9, s17, v6
	v_mad_u64_u32 v[6:7], s[0:1], s16, v6, 0
	v_add3_u32 v7, v7, v8, v9
	v_lshl_add_u64 v[4:5], v[4:5], 3, s[24:25]
	s_and_b64 s[26:27], s[8:9], vcc
	v_lshl_add_u64 v[6:7], v[6:7], 3, v[2:3]
	s_mov_b32 s20, 0
	s_branch .LBB42_7
.LBB42_6:                               ;   in Loop: Header=BB42_7 Depth=2
	s_or_b64 exec, exec, s[0:1]
	s_add_i32 s20, s20, 32
	s_cmp_ge_i32 s20, s21
	s_waitcnt lgkmcnt(0)
	s_barrier
	s_cbranch_scc1 .LBB42_3
.LBB42_7:                               ;   Parent Loop BB42_4 Depth=1
                                        ; =>  This Inner Loop Header: Depth=2
	v_add_u32_e32 v8, s20, v15
	v_cndmask_b32_e64 v9, v8, v0, s[6:7]
	v_cndmask_b32_e64 v10, v0, v8, s[6:7]
	v_cmp_gt_i32_e64 s[0:1], v9, v10
	v_mov_b64_e32 v[12:13], 0
	s_nop 0
	v_cndmask_b32_e64 v10, v0, v8, s[0:1]
	v_cndmask_b32_e64 v11, v8, v0, s[0:1]
	v_max_i32_e32 v8, v10, v11
	v_cmp_gt_i32_e64 s[0:1], s21, v8
	v_mov_b64_e32 v[8:9], 0
	s_and_saveexec_b64 s[28:29], s[0:1]
	s_cbranch_execz .LBB42_9
; %bb.8:                                ;   in Loop: Header=BB42_7 Depth=2
	v_ashrrev_i32_e32 v12, 31, v11
	v_mul_lo_u32 v22, s19, v11
	v_mul_lo_u32 v23, s18, v12
	v_mad_u64_u32 v[12:13], s[0:1], s18, v11, 0
	v_add3_u32 v13, v13, v23, v22
	v_ashrrev_i32_e32 v11, 31, v10
	v_lshl_add_u64 v[12:13], v[12:13], 3, s[14:15]
	v_lshl_add_u64 v[10:11], v[10:11], 3, v[12:13]
	flat_load_dwordx2 v[12:13], v[10:11]
.LBB42_9:                               ;   in Loop: Header=BB42_7 Depth=2
	s_or_b64 exec, exec, s[28:29]
	v_add_u32_e32 v10, s20, v14
	v_cmp_gt_i32_e64 s[0:1], s21, v10
	s_and_b64 s[28:29], s[0:1], vcc
	s_waitcnt vmcnt(0) lgkmcnt(0)
	ds_write_b64 v17, v[12:13]
	s_and_saveexec_b64 s[0:1], s[28:29]
	s_cbranch_execz .LBB42_11
; %bb.10:                               ;   in Loop: Header=BB42_7 Depth=2
	v_ashrrev_i32_e32 v11, 31, v10
	v_lshl_add_u64 v[8:9], v[10:11], 3, v[4:5]
	flat_load_dwordx2 v[8:9], v[8:9]
.LBB42_11:                              ;   in Loop: Header=BB42_7 Depth=2
	s_or_b64 exec, exec, s[0:1]
	s_waitcnt vmcnt(0) lgkmcnt(0)
	ds_write_b64 v19, v[8:9]
	s_waitcnt lgkmcnt(0)
	s_barrier
	s_and_saveexec_b64 s[0:1], s[26:27]
	s_cbranch_execz .LBB42_6
; %bb.12:                               ;   in Loop: Header=BB42_7 Depth=2
	flat_load_dwordx2 v[12:13], v[6:7]
	ds_read2_b64 v[8:11], v18 offset1:32
	ds_read_b128 v[22:25], v16
	ds_read_b128 v[26:29], v16 offset:16
	ds_read2_b64 v[30:33], v18 offset0:64 offset1:96
	ds_read_b128 v[34:37], v16 offset:32
	ds_read_b128 v[38:41], v16 offset:48
	ds_read2_b64 v[42:45], v18 offset0:128 offset1:160
	s_waitcnt lgkmcnt(0)
	v_fma_f64 v[46:47], v[22:23], v[8:9], 0
	v_fmac_f64_e32 v[46:47], v[24:25], v[10:11]
	ds_read2_b64 v[8:11], v18 offset0:192 offset1:224
	v_fmac_f64_e32 v[46:47], v[26:27], v[30:31]
	v_fmac_f64_e32 v[46:47], v[28:29], v[32:33]
	;; [unrolled: 1-line block ×4, first 2 shown]
	ds_read_b128 v[22:25], v16 offset:64
	ds_read2_b64 v[26:29], v1 offset1:32
	s_waitcnt lgkmcnt(0)
	v_fmac_f64_e32 v[46:47], v[38:39], v[8:9]
	v_fmac_f64_e32 v[46:47], v[40:41], v[10:11]
	ds_read_b128 v[8:11], v16 offset:80
	ds_read2_b64 v[30:33], v1 offset0:64 offset1:96
	v_fmac_f64_e32 v[46:47], v[22:23], v[26:27]
	v_fmac_f64_e32 v[46:47], v[24:25], v[28:29]
	ds_read_b128 v[22:25], v16 offset:96
	ds_read2_b64 v[26:29], v1 offset0:128 offset1:160
	s_waitcnt lgkmcnt(0)
	v_fmac_f64_e32 v[46:47], v[8:9], v[30:31]
	v_fmac_f64_e32 v[46:47], v[10:11], v[32:33]
	ds_read_b128 v[8:11], v16 offset:112
	ds_read2_b64 v[30:33], v1 offset0:192 offset1:224
	v_fmac_f64_e32 v[46:47], v[22:23], v[26:27]
	v_fmac_f64_e32 v[46:47], v[24:25], v[28:29]
	ds_read_b128 v[22:25], v16 offset:128
	ds_read2_b64 v[26:29], v20 offset1:32
	s_waitcnt lgkmcnt(0)
	v_fmac_f64_e32 v[46:47], v[8:9], v[30:31]
	v_fmac_f64_e32 v[46:47], v[10:11], v[32:33]
	ds_read_b128 v[8:11], v16 offset:144
	ds_read2_b64 v[30:33], v20 offset0:64 offset1:96
	v_fmac_f64_e32 v[46:47], v[22:23], v[26:27]
	v_fmac_f64_e32 v[46:47], v[24:25], v[28:29]
	ds_read_b128 v[22:25], v16 offset:160
	ds_read2_b64 v[26:29], v20 offset0:128 offset1:160
	s_waitcnt lgkmcnt(0)
	v_fmac_f64_e32 v[46:47], v[8:9], v[30:31]
	v_fmac_f64_e32 v[46:47], v[10:11], v[32:33]
	ds_read_b128 v[8:11], v16 offset:176
	ds_read2_b64 v[30:33], v20 offset0:192 offset1:224
	ds_read_b128 v[34:37], v16 offset:192
	ds_read2_b64 v[38:41], v21 offset1:32
	v_fmac_f64_e32 v[46:47], v[22:23], v[26:27]
	v_fmac_f64_e32 v[46:47], v[24:25], v[28:29]
	s_waitcnt lgkmcnt(0)
	v_fmac_f64_e32 v[46:47], v[8:9], v[30:31]
	v_fmac_f64_e32 v[46:47], v[10:11], v[32:33]
	ds_read_b128 v[8:11], v16 offset:208
	v_fmac_f64_e32 v[46:47], v[34:35], v[38:39]
	v_fmac_f64_e32 v[46:47], v[36:37], v[40:41]
	ds_read2_b64 v[22:25], v21 offset0:64 offset1:96
	ds_read2_b64 v[26:29], v21 offset0:128 offset1:160
	ds_read_b128 v[30:33], v16 offset:224
	ds_read_b128 v[34:37], v16 offset:240
	ds_read2_b64 v[38:41], v21 offset0:192 offset1:224
	s_waitcnt lgkmcnt(0)
	v_fmac_f64_e32 v[46:47], v[8:9], v[22:23]
	v_fmac_f64_e32 v[46:47], v[10:11], v[24:25]
	;; [unrolled: 1-line block ×6, first 2 shown]
	s_waitcnt vmcnt(0)
	v_fmac_f64_e32 v[12:13], s[12:13], v[46:47]
	flat_store_dwordx2 v[6:7], v[12:13]
	s_branch .LBB42_6
.LBB42_13:
	s_endpgm
	.section	.rodata,"a",@progbits
	.p2align	6, 0x0
	.amdhsa_kernel _ZL24rocblas_symm_hemm_kernelILb0ELb0ELi32EdPKPKdPKPdEvbiiT2_T3_lllS8_lllT4_llli
		.amdhsa_group_segment_fixed_size 16384
		.amdhsa_private_segment_fixed_size 0
		.amdhsa_kernarg_size 384
		.amdhsa_user_sgpr_count 2
		.amdhsa_user_sgpr_dispatch_ptr 0
		.amdhsa_user_sgpr_queue_ptr 0
		.amdhsa_user_sgpr_kernarg_segment_ptr 1
		.amdhsa_user_sgpr_dispatch_id 0
		.amdhsa_user_sgpr_kernarg_preload_length 0
		.amdhsa_user_sgpr_kernarg_preload_offset 0
		.amdhsa_user_sgpr_private_segment_size 0
		.amdhsa_uses_dynamic_stack 0
		.amdhsa_enable_private_segment 0
		.amdhsa_system_sgpr_workgroup_id_x 1
		.amdhsa_system_sgpr_workgroup_id_y 1
		.amdhsa_system_sgpr_workgroup_id_z 1
		.amdhsa_system_sgpr_workgroup_info 0
		.amdhsa_system_vgpr_workitem_id 1
		.amdhsa_next_free_vgpr 48
		.amdhsa_next_free_sgpr 32
		.amdhsa_accum_offset 48
		.amdhsa_reserve_vcc 1
		.amdhsa_float_round_mode_32 0
		.amdhsa_float_round_mode_16_64 0
		.amdhsa_float_denorm_mode_32 3
		.amdhsa_float_denorm_mode_16_64 3
		.amdhsa_dx10_clamp 1
		.amdhsa_ieee_mode 1
		.amdhsa_fp16_overflow 0
		.amdhsa_tg_split 0
		.amdhsa_exception_fp_ieee_invalid_op 0
		.amdhsa_exception_fp_denorm_src 0
		.amdhsa_exception_fp_ieee_div_zero 0
		.amdhsa_exception_fp_ieee_overflow 0
		.amdhsa_exception_fp_ieee_underflow 0
		.amdhsa_exception_fp_ieee_inexact 0
		.amdhsa_exception_int_div_zero 0
	.end_amdhsa_kernel
	.section	.text._ZL24rocblas_symm_hemm_kernelILb0ELb0ELi32EdPKPKdPKPdEvbiiT2_T3_lllS8_lllT4_llli,"axG",@progbits,_ZL24rocblas_symm_hemm_kernelILb0ELb0ELi32EdPKPKdPKPdEvbiiT2_T3_lllS8_lllT4_llli,comdat
.Lfunc_end42:
	.size	_ZL24rocblas_symm_hemm_kernelILb0ELb0ELi32EdPKPKdPKPdEvbiiT2_T3_lllS8_lllT4_llli, .Lfunc_end42-_ZL24rocblas_symm_hemm_kernelILb0ELb0ELi32EdPKPKdPKPdEvbiiT2_T3_lllS8_lllT4_llli
                                        ; -- End function
	.set _ZL24rocblas_symm_hemm_kernelILb0ELb0ELi32EdPKPKdPKPdEvbiiT2_T3_lllS8_lllT4_llli.num_vgpr, 48
	.set _ZL24rocblas_symm_hemm_kernelILb0ELb0ELi32EdPKPKdPKPdEvbiiT2_T3_lllS8_lllT4_llli.num_agpr, 0
	.set _ZL24rocblas_symm_hemm_kernelILb0ELb0ELi32EdPKPKdPKPdEvbiiT2_T3_lllS8_lllT4_llli.numbered_sgpr, 32
	.set _ZL24rocblas_symm_hemm_kernelILb0ELb0ELi32EdPKPKdPKPdEvbiiT2_T3_lllS8_lllT4_llli.num_named_barrier, 0
	.set _ZL24rocblas_symm_hemm_kernelILb0ELb0ELi32EdPKPKdPKPdEvbiiT2_T3_lllS8_lllT4_llli.private_seg_size, 0
	.set _ZL24rocblas_symm_hemm_kernelILb0ELb0ELi32EdPKPKdPKPdEvbiiT2_T3_lllS8_lllT4_llli.uses_vcc, 1
	.set _ZL24rocblas_symm_hemm_kernelILb0ELb0ELi32EdPKPKdPKPdEvbiiT2_T3_lllS8_lllT4_llli.uses_flat_scratch, 0
	.set _ZL24rocblas_symm_hemm_kernelILb0ELb0ELi32EdPKPKdPKPdEvbiiT2_T3_lllS8_lllT4_llli.has_dyn_sized_stack, 0
	.set _ZL24rocblas_symm_hemm_kernelILb0ELb0ELi32EdPKPKdPKPdEvbiiT2_T3_lllS8_lllT4_llli.has_recursion, 0
	.set _ZL24rocblas_symm_hemm_kernelILb0ELb0ELi32EdPKPKdPKPdEvbiiT2_T3_lllS8_lllT4_llli.has_indirect_call, 0
	.section	.AMDGPU.csdata,"",@progbits
; Kernel info:
; codeLenInByte = 1176
; TotalNumSgprs: 38
; NumVgprs: 48
; NumAgprs: 0
; TotalNumVgprs: 48
; ScratchSize: 0
; MemoryBound: 0
; FloatMode: 240
; IeeeMode: 1
; LDSByteSize: 16384 bytes/workgroup (compile time only)
; SGPRBlocks: 4
; VGPRBlocks: 5
; NumSGPRsForWavesPerEU: 38
; NumVGPRsForWavesPerEU: 48
; AccumOffset: 48
; Occupancy: 8
; WaveLimiterHint : 1
; COMPUTE_PGM_RSRC2:SCRATCH_EN: 0
; COMPUTE_PGM_RSRC2:USER_SGPR: 2
; COMPUTE_PGM_RSRC2:TRAP_HANDLER: 0
; COMPUTE_PGM_RSRC2:TGID_X_EN: 1
; COMPUTE_PGM_RSRC2:TGID_Y_EN: 1
; COMPUTE_PGM_RSRC2:TGID_Z_EN: 1
; COMPUTE_PGM_RSRC2:TIDIG_COMP_CNT: 1
; COMPUTE_PGM_RSRC3_GFX90A:ACCUM_OFFSET: 11
; COMPUTE_PGM_RSRC3_GFX90A:TG_SPLIT: 0
	.section	.text._ZL24rocblas_symm_hemm_kernelILb0ELb1ELi32EdPKPKdPKPdEvbiiT2_T3_lllS8_lllT4_llli,"axG",@progbits,_ZL24rocblas_symm_hemm_kernelILb0ELb1ELi32EdPKPKdPKPdEvbiiT2_T3_lllS8_lllT4_llli,comdat
	.globl	_ZL24rocblas_symm_hemm_kernelILb0ELb1ELi32EdPKPKdPKPdEvbiiT2_T3_lllS8_lllT4_llli ; -- Begin function _ZL24rocblas_symm_hemm_kernelILb0ELb1ELi32EdPKPKdPKPdEvbiiT2_T3_lllS8_lllT4_llli
	.p2align	8
	.type	_ZL24rocblas_symm_hemm_kernelILb0ELb1ELi32EdPKPKdPKPdEvbiiT2_T3_lllS8_lllT4_llli,@function
_ZL24rocblas_symm_hemm_kernelILb0ELb1ELi32EdPKPKdPKPdEvbiiT2_T3_lllS8_lllT4_llli: ; @_ZL24rocblas_symm_hemm_kernelILb0ELb1ELi32EdPKPKdPKPdEvbiiT2_T3_lllS8_lllT4_llli
; %bb.0:
	s_load_dwordx8 s[12:19], s[0:1], 0x10
	s_waitcnt lgkmcnt(0)
	v_cmp_eq_f64_e64 s[6:7], s[12:13], 0
	s_and_b64 vcc, exec, s[6:7]
	s_cbranch_vccnz .LBB43_13
; %bb.1:
	s_load_dwordx4 s[8:11], s[0:1], 0x0
	s_waitcnt lgkmcnt(0)
	s_add_i32 s5, s10, -1
	s_ashr_i32 s6, s5, 31
	s_lshr_b32 s6, s6, 27
	s_add_i32 s5, s5, s6
	s_ashr_i32 s11, s5, 5
	s_cmp_gt_i32 s3, s11
	s_cbranch_scc1 .LBB43_13
; %bb.2:
	s_mov_b32 s5, 0
	s_lshl_b64 s[4:5], s[4:5], 3
	s_add_u32 s6, s14, s4
	s_addc_u32 s7, s15, s5
	s_load_dwordx2 s[22:23], s[6:7], 0x0
	s_load_dwordx4 s[24:27], s[0:1], 0x38
	s_load_dwordx2 s[14:15], s[0:1], 0x48
	s_load_dwordx4 s[28:31], s[0:1], 0x58
	s_load_dwordx2 s[20:21], s[0:1], 0x68
	s_lshl_b64 s[6:7], s[16:17], 3
	s_waitcnt lgkmcnt(0)
	s_add_u32 s16, s22, s6
	s_addc_u32 s17, s23, s7
	s_add_u32 s6, s24, s4
	s_addc_u32 s7, s25, s5
	;; [unrolled: 2-line block ×3, first 2 shown]
	s_load_dwordx2 s[22:23], s[4:5], 0x0
	s_load_dwordx2 s[24:25], s[6:7], 0x0
	s_bitcmp1_b32 s8, 0
	s_cselect_b64 s[6:7], -1, 0
	s_lshl_b64 s[4:5], s[30:31], 3
	s_waitcnt lgkmcnt(0)
	s_add_u32 s4, s22, s4
	s_addc_u32 s5, s23, s5
	s_lshl_b64 s[22:23], s[26:27], 3
	s_add_u32 s22, s24, s22
	v_and_b32_e32 v10, 0x3ff, v0
	s_addc_u32 s23, s25, s23
	v_lshl_add_u32 v2, s2, 5, v10
	s_load_dword s2, s[0:1], 0x84
	v_bfe_u32 v11, v0, 10, 10
	s_cmp_gt_i32 s10, 0
	v_ashrrev_i32_e32 v3, 31, v2
	v_lshlrev_b32_e32 v12, 8, v10
	v_lshlrev_b32_e32 v4, 3, v11
	s_cselect_b64 s[0:1], -1, 0
	v_cmp_gt_i32_e64 s[8:9], s9, v2
	v_lshlrev_b64 v[2:3], 3, v[2:3]
	v_add_u32_e32 v13, v12, v4
	v_or_b32_e32 v14, 0x2000, v4
	v_cndmask_b32_e64 v4, 0, 1, s[0:1]
	v_lshl_add_u64 v[0:1], s[22:23], 0, v[2:3]
	v_add_u32_e32 v15, v14, v12
	v_lshl_add_u64 v[2:3], s[4:5], 0, v[2:3]
	v_cmp_ne_u32_e64 s[4:5], 1, v4
	v_add_u32_e32 v16, 0x800, v14
	v_add_u32_e32 v17, 0x1000, v14
	;; [unrolled: 1-line block ×3, first 2 shown]
	s_branch .LBB43_4
.LBB43_3:                               ;   in Loop: Header=BB43_4 Depth=1
	s_waitcnt lgkmcnt(0)
	s_add_i32 s3, s3, s2
	s_cmp_gt_i32 s3, s11
	s_cbranch_scc1 .LBB43_13
.LBB43_4:                               ; =>This Loop Header: Depth=1
                                        ;     Child Loop BB43_7 Depth 2
	s_and_b64 vcc, exec, s[4:5]
	s_cbranch_vccnz .LBB43_3
; %bb.5:                                ;   in Loop: Header=BB43_4 Depth=1
	v_lshl_add_u32 v19, s3, 5, v11
	v_ashrrev_i32_e32 v4, 31, v19
	v_mul_lo_u32 v6, s20, v4
	v_mul_lo_u32 v7, s21, v19
	v_mad_u64_u32 v[4:5], s[22:23], s20, v19, 0
	v_cmp_gt_i32_e32 vcc, s10, v19
	v_add3_u32 v5, v5, v6, v7
	s_and_b64 s[0:1], s[8:9], vcc
	v_lshl_add_u64 v[4:5], v[4:5], 3, v[2:3]
	s_mov_b32 s24, 0
	s_branch .LBB43_7
.LBB43_6:                               ;   in Loop: Header=BB43_7 Depth=2
	s_or_b64 exec, exec, s[22:23]
	s_add_i32 s24, s24, 32
	s_cmp_ge_i32 s24, s10
	s_waitcnt lgkmcnt(0)
	s_barrier
	s_cbranch_scc1 .LBB43_3
.LBB43_7:                               ;   Parent Loop BB43_4 Depth=1
                                        ; =>  This Inner Loop Header: Depth=2
	v_add_u32_e32 v20, s24, v11
	v_cmp_gt_i32_e32 vcc, s10, v20
	s_and_b64 s[26:27], s[8:9], vcc
	v_mov_b64_e32 v[6:7], 0
	v_mov_b64_e32 v[8:9], 0
	s_and_saveexec_b64 s[22:23], s[26:27]
	s_cbranch_execz .LBB43_9
; %bb.8:                                ;   in Loop: Header=BB43_7 Depth=2
	v_ashrrev_i32_e32 v8, 31, v20
	v_mul_lo_u32 v21, s15, v20
	v_mul_lo_u32 v22, s14, v8
	v_mad_u64_u32 v[8:9], s[26:27], s14, v20, 0
	v_add3_u32 v9, v9, v22, v21
	v_lshl_add_u64 v[8:9], v[8:9], 3, v[0:1]
	flat_load_dwordx2 v[8:9], v[8:9]
.LBB43_9:                               ;   in Loop: Header=BB43_7 Depth=2
	s_or_b64 exec, exec, s[22:23]
	s_waitcnt vmcnt(0) lgkmcnt(0)
	ds_write_b64 v13, v[8:9]
	v_add_u32_e32 v9, s24, v10
	v_cndmask_b32_e64 v8, v19, v9, s[6:7]
	v_cndmask_b32_e64 v20, v9, v19, s[6:7]
	v_cmp_gt_i32_e32 vcc, v8, v20
	s_nop 1
	v_cndmask_b32_e32 v8, v9, v19, vcc
	v_cndmask_b32_e32 v9, v19, v9, vcc
	v_max_i32_e32 v20, v8, v9
	v_cmp_gt_i32_e32 vcc, s10, v20
	s_and_saveexec_b64 s[22:23], vcc
	s_cbranch_execz .LBB43_11
; %bb.10:                               ;   in Loop: Header=BB43_7 Depth=2
	v_ashrrev_i32_e32 v6, 31, v9
	v_mul_lo_u32 v20, s19, v9
	v_mul_lo_u32 v21, s18, v6
	v_mad_u64_u32 v[6:7], s[26:27], s18, v9, 0
	v_add3_u32 v7, v7, v21, v20
	v_ashrrev_i32_e32 v9, 31, v8
	v_lshl_add_u64 v[6:7], v[6:7], 3, s[16:17]
	v_lshl_add_u64 v[6:7], v[8:9], 3, v[6:7]
	flat_load_dwordx2 v[6:7], v[6:7]
.LBB43_11:                              ;   in Loop: Header=BB43_7 Depth=2
	s_or_b64 exec, exec, s[22:23]
	s_waitcnt vmcnt(0) lgkmcnt(0)
	ds_write_b64 v15, v[6:7]
	s_waitcnt lgkmcnt(0)
	s_barrier
	s_and_saveexec_b64 s[22:23], s[0:1]
	s_cbranch_execz .LBB43_6
; %bb.12:                               ;   in Loop: Header=BB43_7 Depth=2
	flat_load_dwordx2 v[44:45], v[4:5]
	ds_read2_b64 v[6:9], v14 offset1:32
	ds_read_b128 v[20:23], v12
	ds_read_b128 v[24:27], v12 offset:16
	ds_read2_b64 v[28:31], v14 offset0:64 offset1:96
	ds_read_b128 v[32:35], v12 offset:32
	ds_read_b128 v[36:39], v12 offset:48
	ds_read2_b64 v[40:43], v14 offset0:128 offset1:160
	s_waitcnt lgkmcnt(0)
	v_fma_f64 v[46:47], v[20:21], v[6:7], 0
	v_fmac_f64_e32 v[46:47], v[22:23], v[8:9]
	ds_read2_b64 v[6:9], v14 offset0:192 offset1:224
	v_fmac_f64_e32 v[46:47], v[24:25], v[28:29]
	v_fmac_f64_e32 v[46:47], v[26:27], v[30:31]
	;; [unrolled: 1-line block ×4, first 2 shown]
	ds_read_b128 v[20:23], v12 offset:64
	ds_read2_b64 v[24:27], v16 offset1:32
	s_waitcnt lgkmcnt(0)
	v_fmac_f64_e32 v[46:47], v[36:37], v[6:7]
	v_fmac_f64_e32 v[46:47], v[38:39], v[8:9]
	ds_read_b128 v[6:9], v12 offset:80
	ds_read2_b64 v[28:31], v16 offset0:64 offset1:96
	v_fmac_f64_e32 v[46:47], v[20:21], v[24:25]
	v_fmac_f64_e32 v[46:47], v[22:23], v[26:27]
	ds_read_b128 v[20:23], v12 offset:96
	ds_read2_b64 v[24:27], v16 offset0:128 offset1:160
	s_waitcnt lgkmcnt(0)
	v_fmac_f64_e32 v[46:47], v[6:7], v[28:29]
	v_fmac_f64_e32 v[46:47], v[8:9], v[30:31]
	ds_read_b128 v[6:9], v12 offset:112
	ds_read2_b64 v[28:31], v16 offset0:192 offset1:224
	v_fmac_f64_e32 v[46:47], v[20:21], v[24:25]
	v_fmac_f64_e32 v[46:47], v[22:23], v[26:27]
	ds_read_b128 v[20:23], v12 offset:128
	ds_read2_b64 v[24:27], v17 offset1:32
	s_waitcnt lgkmcnt(0)
	v_fmac_f64_e32 v[46:47], v[6:7], v[28:29]
	v_fmac_f64_e32 v[46:47], v[8:9], v[30:31]
	ds_read_b128 v[6:9], v12 offset:144
	ds_read2_b64 v[28:31], v17 offset0:64 offset1:96
	v_fmac_f64_e32 v[46:47], v[20:21], v[24:25]
	v_fmac_f64_e32 v[46:47], v[22:23], v[26:27]
	ds_read_b128 v[20:23], v12 offset:160
	ds_read2_b64 v[24:27], v17 offset0:128 offset1:160
	s_waitcnt lgkmcnt(0)
	v_fmac_f64_e32 v[46:47], v[6:7], v[28:29]
	v_fmac_f64_e32 v[46:47], v[8:9], v[30:31]
	ds_read_b128 v[6:9], v12 offset:176
	ds_read2_b64 v[28:31], v17 offset0:192 offset1:224
	ds_read_b128 v[32:35], v12 offset:192
	ds_read2_b64 v[36:39], v18 offset1:32
	v_fmac_f64_e32 v[46:47], v[20:21], v[24:25]
	v_fmac_f64_e32 v[46:47], v[22:23], v[26:27]
	s_waitcnt lgkmcnt(0)
	v_fmac_f64_e32 v[46:47], v[6:7], v[28:29]
	v_fmac_f64_e32 v[46:47], v[8:9], v[30:31]
	ds_read_b128 v[6:9], v12 offset:208
	v_fmac_f64_e32 v[46:47], v[32:33], v[36:37]
	v_fmac_f64_e32 v[46:47], v[34:35], v[38:39]
	ds_read2_b64 v[20:23], v18 offset0:64 offset1:96
	ds_read2_b64 v[24:27], v18 offset0:128 offset1:160
	ds_read_b128 v[28:31], v12 offset:224
	ds_read_b128 v[32:35], v12 offset:240
	ds_read2_b64 v[36:39], v18 offset0:192 offset1:224
	s_waitcnt lgkmcnt(0)
	v_fmac_f64_e32 v[46:47], v[6:7], v[20:21]
	v_fmac_f64_e32 v[46:47], v[8:9], v[22:23]
	;; [unrolled: 1-line block ×6, first 2 shown]
	s_waitcnt vmcnt(0)
	v_fmac_f64_e32 v[44:45], s[12:13], v[46:47]
	flat_store_dwordx2 v[4:5], v[44:45]
	s_branch .LBB43_6
.LBB43_13:
	s_endpgm
	.section	.rodata,"a",@progbits
	.p2align	6, 0x0
	.amdhsa_kernel _ZL24rocblas_symm_hemm_kernelILb0ELb1ELi32EdPKPKdPKPdEvbiiT2_T3_lllS8_lllT4_llli
		.amdhsa_group_segment_fixed_size 16384
		.amdhsa_private_segment_fixed_size 0
		.amdhsa_kernarg_size 384
		.amdhsa_user_sgpr_count 2
		.amdhsa_user_sgpr_dispatch_ptr 0
		.amdhsa_user_sgpr_queue_ptr 0
		.amdhsa_user_sgpr_kernarg_segment_ptr 1
		.amdhsa_user_sgpr_dispatch_id 0
		.amdhsa_user_sgpr_kernarg_preload_length 0
		.amdhsa_user_sgpr_kernarg_preload_offset 0
		.amdhsa_user_sgpr_private_segment_size 0
		.amdhsa_uses_dynamic_stack 0
		.amdhsa_enable_private_segment 0
		.amdhsa_system_sgpr_workgroup_id_x 1
		.amdhsa_system_sgpr_workgroup_id_y 1
		.amdhsa_system_sgpr_workgroup_id_z 1
		.amdhsa_system_sgpr_workgroup_info 0
		.amdhsa_system_vgpr_workitem_id 1
		.amdhsa_next_free_vgpr 48
		.amdhsa_next_free_sgpr 32
		.amdhsa_accum_offset 48
		.amdhsa_reserve_vcc 1
		.amdhsa_float_round_mode_32 0
		.amdhsa_float_round_mode_16_64 0
		.amdhsa_float_denorm_mode_32 3
		.amdhsa_float_denorm_mode_16_64 3
		.amdhsa_dx10_clamp 1
		.amdhsa_ieee_mode 1
		.amdhsa_fp16_overflow 0
		.amdhsa_tg_split 0
		.amdhsa_exception_fp_ieee_invalid_op 0
		.amdhsa_exception_fp_denorm_src 0
		.amdhsa_exception_fp_ieee_div_zero 0
		.amdhsa_exception_fp_ieee_overflow 0
		.amdhsa_exception_fp_ieee_underflow 0
		.amdhsa_exception_fp_ieee_inexact 0
		.amdhsa_exception_int_div_zero 0
	.end_amdhsa_kernel
	.section	.text._ZL24rocblas_symm_hemm_kernelILb0ELb1ELi32EdPKPKdPKPdEvbiiT2_T3_lllS8_lllT4_llli,"axG",@progbits,_ZL24rocblas_symm_hemm_kernelILb0ELb1ELi32EdPKPKdPKPdEvbiiT2_T3_lllS8_lllT4_llli,comdat
.Lfunc_end43:
	.size	_ZL24rocblas_symm_hemm_kernelILb0ELb1ELi32EdPKPKdPKPdEvbiiT2_T3_lllS8_lllT4_llli, .Lfunc_end43-_ZL24rocblas_symm_hemm_kernelILb0ELb1ELi32EdPKPKdPKPdEvbiiT2_T3_lllS8_lllT4_llli
                                        ; -- End function
	.set _ZL24rocblas_symm_hemm_kernelILb0ELb1ELi32EdPKPKdPKPdEvbiiT2_T3_lllS8_lllT4_llli.num_vgpr, 48
	.set _ZL24rocblas_symm_hemm_kernelILb0ELb1ELi32EdPKPKdPKPdEvbiiT2_T3_lllS8_lllT4_llli.num_agpr, 0
	.set _ZL24rocblas_symm_hemm_kernelILb0ELb1ELi32EdPKPKdPKPdEvbiiT2_T3_lllS8_lllT4_llli.numbered_sgpr, 32
	.set _ZL24rocblas_symm_hemm_kernelILb0ELb1ELi32EdPKPKdPKPdEvbiiT2_T3_lllS8_lllT4_llli.num_named_barrier, 0
	.set _ZL24rocblas_symm_hemm_kernelILb0ELb1ELi32EdPKPKdPKPdEvbiiT2_T3_lllS8_lllT4_llli.private_seg_size, 0
	.set _ZL24rocblas_symm_hemm_kernelILb0ELb1ELi32EdPKPKdPKPdEvbiiT2_T3_lllS8_lllT4_llli.uses_vcc, 1
	.set _ZL24rocblas_symm_hemm_kernelILb0ELb1ELi32EdPKPKdPKPdEvbiiT2_T3_lllS8_lllT4_llli.uses_flat_scratch, 0
	.set _ZL24rocblas_symm_hemm_kernelILb0ELb1ELi32EdPKPKdPKPdEvbiiT2_T3_lllS8_lllT4_llli.has_dyn_sized_stack, 0
	.set _ZL24rocblas_symm_hemm_kernelILb0ELb1ELi32EdPKPKdPKPdEvbiiT2_T3_lllS8_lllT4_llli.has_recursion, 0
	.set _ZL24rocblas_symm_hemm_kernelILb0ELb1ELi32EdPKPKdPKPdEvbiiT2_T3_lllS8_lllT4_llli.has_indirect_call, 0
	.section	.AMDGPU.csdata,"",@progbits
; Kernel info:
; codeLenInByte = 1160
; TotalNumSgprs: 38
; NumVgprs: 48
; NumAgprs: 0
; TotalNumVgprs: 48
; ScratchSize: 0
; MemoryBound: 0
; FloatMode: 240
; IeeeMode: 1
; LDSByteSize: 16384 bytes/workgroup (compile time only)
; SGPRBlocks: 4
; VGPRBlocks: 5
; NumSGPRsForWavesPerEU: 38
; NumVGPRsForWavesPerEU: 48
; AccumOffset: 48
; Occupancy: 8
; WaveLimiterHint : 1
; COMPUTE_PGM_RSRC2:SCRATCH_EN: 0
; COMPUTE_PGM_RSRC2:USER_SGPR: 2
; COMPUTE_PGM_RSRC2:TRAP_HANDLER: 0
; COMPUTE_PGM_RSRC2:TGID_X_EN: 1
; COMPUTE_PGM_RSRC2:TGID_Y_EN: 1
; COMPUTE_PGM_RSRC2:TGID_Z_EN: 1
; COMPUTE_PGM_RSRC2:TIDIG_COMP_CNT: 1
; COMPUTE_PGM_RSRC3_GFX90A:ACCUM_OFFSET: 11
; COMPUTE_PGM_RSRC3_GFX90A:TG_SPLIT: 0
	.section	.text._ZL25rocblas_symm_scale_kernelILi128ELi8EPK19rocblas_complex_numIfEPKPS1_EviiT1_T2_llli,"axG",@progbits,_ZL25rocblas_symm_scale_kernelILi128ELi8EPK19rocblas_complex_numIfEPKPS1_EviiT1_T2_llli,comdat
	.globl	_ZL25rocblas_symm_scale_kernelILi128ELi8EPK19rocblas_complex_numIfEPKPS1_EviiT1_T2_llli ; -- Begin function _ZL25rocblas_symm_scale_kernelILi128ELi8EPK19rocblas_complex_numIfEPKPS1_EviiT1_T2_llli
	.p2align	8
	.type	_ZL25rocblas_symm_scale_kernelILi128ELi8EPK19rocblas_complex_numIfEPKPS1_EviiT1_T2_llli,@function
_ZL25rocblas_symm_scale_kernelILi128ELi8EPK19rocblas_complex_numIfEPKPS1_EviiT1_T2_llli: ; @_ZL25rocblas_symm_scale_kernelILi128ELi8EPK19rocblas_complex_numIfEPKPS1_EviiT1_T2_llli
; %bb.0:
	s_load_dwordx8 s[8:15], s[0:1], 0x8
	s_waitcnt lgkmcnt(0)
	s_load_dwordx2 s[6:7], s[8:9], 0x0
	s_waitcnt lgkmcnt(0)
	v_cmp_eq_f32_e64 s[8:9], s7, 0
	v_cmp_eq_f32_e64 s[16:17], s6, 1.0
	s_and_b64 s[8:9], s[16:17], s[8:9]
	s_and_b64 vcc, exec, s[8:9]
	s_cbranch_vccnz .LBB44_6
; %bb.1:
	s_load_dwordx2 s[16:17], s[0:1], 0x0
	v_and_b32_e32 v1, 0x3ff, v0
	v_bfe_u32 v0, v0, 10, 10
	v_lshl_add_u32 v2, s2, 7, v1
	v_lshl_add_u32 v0, s3, 3, v0
	v_mov_b32_e32 v1, 0
	s_waitcnt lgkmcnt(0)
	s_ashr_i32 s9, s17, 31
	s_mov_b32 s8, s17
	v_cmp_gt_u32_e32 vcc, s16, v2
	v_cmp_gt_i64_e64 s[2:3], s[8:9], v[0:1]
	s_and_b64 s[2:3], vcc, s[2:3]
	s_and_saveexec_b64 s[16:17], s[2:3]
	s_cbranch_execz .LBB44_6
; %bb.2:
	s_mov_b32 s5, 0
	s_lshl_b64 s[2:3], s[4:5], 3
	s_add_u32 s2, s10, s2
	s_addc_u32 s3, s11, s3
	s_load_dwordx2 s[10:11], s[2:3], 0x0
	s_or_b32 s2, s6, s7
	s_load_dword s3, s[0:1], 0x3c
	v_mad_u64_u32 v[4:5], s[16:17], s14, v0, 0
	s_bitset0_b32 s2, 31
	v_mov_b32_e32 v6, v5
	s_cmp_lg_u32 s2, 0
	v_mad_u64_u32 v[6:7], s[16:17], s15, v0, v[6:7]
	s_cselect_b64 s[0:1], -1, 0
	v_mov_b32_e32 v5, v6
	s_lshl_b64 s[12:13], s[12:13], 3
	v_mov_b32_e32 v3, v1
	v_lshl_add_u64 v[4:5], v[4:5], 3, s[12:13]
	s_waitcnt lgkmcnt(0)
	s_lshl_b32 s4, s3, 3
	v_lshl_add_u64 v[2:3], v[2:3], 3, v[4:5]
	v_lshl_add_u64 v[2:3], s[10:11], 0, v[2:3]
	s_mul_i32 s10, s15, s4
	s_mul_hi_u32 s11, s14, s4
	s_add_i32 s11, s11, s10
	s_mul_i32 s10, s14, s4
	v_cndmask_b32_e64 v4, 0, 1, s[0:1]
	s_mov_b32 s2, s6
	s_mov_b32 s3, s6
	;; [unrolled: 1-line block ×3, first 2 shown]
	s_lshl_b64 s[10:11], s[10:11], 3
	s_mov_b64 s[12:13], 0
	v_cmp_ne_u32_e64 s[0:1], 1, v4
	s_branch .LBB44_4
.LBB44_3:                               ;   in Loop: Header=BB44_4 Depth=1
	v_lshl_add_u64 v[0:1], v[0:1], 0, s[4:5]
	v_cmp_le_i64_e32 vcc, s[8:9], v[0:1]
	flat_store_dwordx2 v[2:3], v[4:5]
	s_or_b64 s[12:13], vcc, s[12:13]
	v_lshl_add_u64 v[2:3], v[2:3], 0, s[10:11]
	s_andn2_b64 exec, exec, s[12:13]
	s_cbranch_execz .LBB44_6
.LBB44_4:                               ; =>This Inner Loop Header: Depth=1
	v_mov_b32_e32 v4, 0
	s_and_b64 vcc, exec, s[0:1]
	v_mov_b32_e32 v5, 0
	s_cbranch_vccnz .LBB44_3
; %bb.5:                                ;   in Loop: Header=BB44_4 Depth=1
	flat_load_dwordx2 v[6:7], v[2:3]
	s_waitcnt vmcnt(0) lgkmcnt(0)
	v_pk_mul_f32 v[8:9], v[6:7], s[6:7] op_sel:[1,0] op_sel_hi:[0,1]
	v_pk_fma_f32 v[4:5], v[6:7], s[2:3], v[8:9] neg_lo:[0,0,1] neg_hi:[0,0,1]
	v_pk_fma_f32 v[6:7], v[6:7], s[2:3], v[8:9]
	s_nop 0
	v_mov_b32_e32 v5, v7
	s_branch .LBB44_3
.LBB44_6:
	s_endpgm
	.section	.rodata,"a",@progbits
	.p2align	6, 0x0
	.amdhsa_kernel _ZL25rocblas_symm_scale_kernelILi128ELi8EPK19rocblas_complex_numIfEPKPS1_EviiT1_T2_llli
		.amdhsa_group_segment_fixed_size 0
		.amdhsa_private_segment_fixed_size 0
		.amdhsa_kernarg_size 312
		.amdhsa_user_sgpr_count 2
		.amdhsa_user_sgpr_dispatch_ptr 0
		.amdhsa_user_sgpr_queue_ptr 0
		.amdhsa_user_sgpr_kernarg_segment_ptr 1
		.amdhsa_user_sgpr_dispatch_id 0
		.amdhsa_user_sgpr_kernarg_preload_length 0
		.amdhsa_user_sgpr_kernarg_preload_offset 0
		.amdhsa_user_sgpr_private_segment_size 0
		.amdhsa_uses_dynamic_stack 0
		.amdhsa_enable_private_segment 0
		.amdhsa_system_sgpr_workgroup_id_x 1
		.amdhsa_system_sgpr_workgroup_id_y 1
		.amdhsa_system_sgpr_workgroup_id_z 1
		.amdhsa_system_sgpr_workgroup_info 0
		.amdhsa_system_vgpr_workitem_id 1
		.amdhsa_next_free_vgpr 10
		.amdhsa_next_free_sgpr 18
		.amdhsa_accum_offset 12
		.amdhsa_reserve_vcc 1
		.amdhsa_float_round_mode_32 0
		.amdhsa_float_round_mode_16_64 0
		.amdhsa_float_denorm_mode_32 3
		.amdhsa_float_denorm_mode_16_64 3
		.amdhsa_dx10_clamp 1
		.amdhsa_ieee_mode 1
		.amdhsa_fp16_overflow 0
		.amdhsa_tg_split 0
		.amdhsa_exception_fp_ieee_invalid_op 0
		.amdhsa_exception_fp_denorm_src 0
		.amdhsa_exception_fp_ieee_div_zero 0
		.amdhsa_exception_fp_ieee_overflow 0
		.amdhsa_exception_fp_ieee_underflow 0
		.amdhsa_exception_fp_ieee_inexact 0
		.amdhsa_exception_int_div_zero 0
	.end_amdhsa_kernel
	.section	.text._ZL25rocblas_symm_scale_kernelILi128ELi8EPK19rocblas_complex_numIfEPKPS1_EviiT1_T2_llli,"axG",@progbits,_ZL25rocblas_symm_scale_kernelILi128ELi8EPK19rocblas_complex_numIfEPKPS1_EviiT1_T2_llli,comdat
.Lfunc_end44:
	.size	_ZL25rocblas_symm_scale_kernelILi128ELi8EPK19rocblas_complex_numIfEPKPS1_EviiT1_T2_llli, .Lfunc_end44-_ZL25rocblas_symm_scale_kernelILi128ELi8EPK19rocblas_complex_numIfEPKPS1_EviiT1_T2_llli
                                        ; -- End function
	.set _ZL25rocblas_symm_scale_kernelILi128ELi8EPK19rocblas_complex_numIfEPKPS1_EviiT1_T2_llli.num_vgpr, 10
	.set _ZL25rocblas_symm_scale_kernelILi128ELi8EPK19rocblas_complex_numIfEPKPS1_EviiT1_T2_llli.num_agpr, 0
	.set _ZL25rocblas_symm_scale_kernelILi128ELi8EPK19rocblas_complex_numIfEPKPS1_EviiT1_T2_llli.numbered_sgpr, 18
	.set _ZL25rocblas_symm_scale_kernelILi128ELi8EPK19rocblas_complex_numIfEPKPS1_EviiT1_T2_llli.num_named_barrier, 0
	.set _ZL25rocblas_symm_scale_kernelILi128ELi8EPK19rocblas_complex_numIfEPKPS1_EviiT1_T2_llli.private_seg_size, 0
	.set _ZL25rocblas_symm_scale_kernelILi128ELi8EPK19rocblas_complex_numIfEPKPS1_EviiT1_T2_llli.uses_vcc, 1
	.set _ZL25rocblas_symm_scale_kernelILi128ELi8EPK19rocblas_complex_numIfEPKPS1_EviiT1_T2_llli.uses_flat_scratch, 0
	.set _ZL25rocblas_symm_scale_kernelILi128ELi8EPK19rocblas_complex_numIfEPKPS1_EviiT1_T2_llli.has_dyn_sized_stack, 0
	.set _ZL25rocblas_symm_scale_kernelILi128ELi8EPK19rocblas_complex_numIfEPKPS1_EviiT1_T2_llli.has_recursion, 0
	.set _ZL25rocblas_symm_scale_kernelILi128ELi8EPK19rocblas_complex_numIfEPKPS1_EviiT1_T2_llli.has_indirect_call, 0
	.section	.AMDGPU.csdata,"",@progbits
; Kernel info:
; codeLenInByte = 408
; TotalNumSgprs: 24
; NumVgprs: 10
; NumAgprs: 0
; TotalNumVgprs: 10
; ScratchSize: 0
; MemoryBound: 0
; FloatMode: 240
; IeeeMode: 1
; LDSByteSize: 0 bytes/workgroup (compile time only)
; SGPRBlocks: 2
; VGPRBlocks: 1
; NumSGPRsForWavesPerEU: 24
; NumVGPRsForWavesPerEU: 10
; AccumOffset: 12
; Occupancy: 8
; WaveLimiterHint : 0
; COMPUTE_PGM_RSRC2:SCRATCH_EN: 0
; COMPUTE_PGM_RSRC2:USER_SGPR: 2
; COMPUTE_PGM_RSRC2:TRAP_HANDLER: 0
; COMPUTE_PGM_RSRC2:TGID_X_EN: 1
; COMPUTE_PGM_RSRC2:TGID_Y_EN: 1
; COMPUTE_PGM_RSRC2:TGID_Z_EN: 1
; COMPUTE_PGM_RSRC2:TIDIG_COMP_CNT: 1
; COMPUTE_PGM_RSRC3_GFX90A:ACCUM_OFFSET: 2
; COMPUTE_PGM_RSRC3_GFX90A:TG_SPLIT: 0
	.section	.text._ZL24rocblas_symm_hemm_kernelILb0ELb0ELi32EPK19rocblas_complex_numIfEPKS3_PKPS1_EvbiiT2_T3_lllSA_lllT4_llli,"axG",@progbits,_ZL24rocblas_symm_hemm_kernelILb0ELb0ELi32EPK19rocblas_complex_numIfEPKS3_PKPS1_EvbiiT2_T3_lllSA_lllT4_llli,comdat
	.globl	_ZL24rocblas_symm_hemm_kernelILb0ELb0ELi32EPK19rocblas_complex_numIfEPKS3_PKPS1_EvbiiT2_T3_lllSA_lllT4_llli ; -- Begin function _ZL24rocblas_symm_hemm_kernelILb0ELb0ELi32EPK19rocblas_complex_numIfEPKS3_PKPS1_EvbiiT2_T3_lllSA_lllT4_llli
	.p2align	8
	.type	_ZL24rocblas_symm_hemm_kernelILb0ELb0ELi32EPK19rocblas_complex_numIfEPKS3_PKPS1_EvbiiT2_T3_lllSA_lllT4_llli,@function
_ZL24rocblas_symm_hemm_kernelILb0ELb0ELi32EPK19rocblas_complex_numIfEPKS3_PKPS1_EvbiiT2_T3_lllSA_lllT4_llli: ; @_ZL24rocblas_symm_hemm_kernelILb0ELb0ELi32EPK19rocblas_complex_numIfEPKS3_PKPS1_EvbiiT2_T3_lllSA_lllT4_llli
; %bb.0:
	s_load_dwordx8 s[8:15], s[0:1], 0x10
	s_waitcnt lgkmcnt(0)
	s_load_dwordx2 s[20:21], s[8:9], 0x0
	s_waitcnt lgkmcnt(0)
	v_cmp_eq_f32_e64 s[6:7], s20, 0
	v_cmp_eq_f32_e64 s[8:9], s21, 0
	s_and_b64 s[6:7], s[6:7], s[8:9]
	s_and_b64 vcc, exec, s[6:7]
	s_cbranch_vccnz .LBB45_13
; %bb.1:
	s_load_dwordx4 s[16:19], s[0:1], 0x0
	s_waitcnt lgkmcnt(0)
	s_add_i32 s5, s18, -1
	s_ashr_i32 s6, s5, 31
	s_lshr_b32 s6, s6, 27
	s_add_i32 s5, s5, s6
	s_ashr_i32 s19, s5, 5
	s_cmp_gt_i32 s3, s19
	s_cbranch_scc1 .LBB45_13
; %bb.2:
	s_mov_b32 s5, 0
	s_lshl_b64 s[8:9], s[4:5], 3
	s_add_u32 s22, s10, s8
	s_addc_u32 s23, s11, s9
	s_load_dwordx2 s[24:25], s[22:23], 0x0
	s_load_dwordx4 s[4:7], s[0:1], 0x38
	s_load_dwordx2 s[10:11], s[0:1], 0x48
	s_lshl_b64 s[12:13], s[12:13], 3
	v_and_b32_e32 v16, 0x3ff, v0
	s_waitcnt lgkmcnt(0)
	s_add_u32 s12, s24, s12
	s_addc_u32 s13, s25, s13
	s_add_u32 s4, s4, s8
	s_addc_u32 s5, s5, s9
	s_load_dwordx2 s[24:25], s[4:5], 0x0
	s_load_dwordx4 s[28:31], s[0:1], 0x58
	s_load_dwordx2 s[22:23], s[0:1], 0x68
	s_lshl_b64 s[4:5], s[6:7], 3
	v_lshl_add_u32 v8, s2, 5, v16
	s_waitcnt lgkmcnt(0)
	s_add_u32 s24, s24, s4
	s_addc_u32 s25, s25, s5
	s_add_u32 s4, s28, s8
	s_addc_u32 s5, s29, s9
	s_load_dwordx2 s[4:5], s[4:5], 0x0
	s_bitcmp1_b32 s16, 0
	s_cselect_b64 s[6:7], -1, 0
	s_lshl_b64 s[8:9], s[30:31], 3
	s_load_dword s2, s[0:1], 0x84
	s_waitcnt lgkmcnt(0)
	s_add_u32 s4, s4, s8
	s_addc_u32 s5, s5, s9
	v_bfe_u32 v17, v0, 10, 10
	s_cmp_gt_i32 s17, 0
	v_lshlrev_b32_e32 v18, 8, v16
	v_lshlrev_b32_e32 v0, 3, v17
	s_cselect_b64 s[0:1], -1, 0
	v_add_u32_e32 v19, v18, v0
	v_or_b32_e32 v20, 0x2000, v0
	v_ashrrev_i32_e32 v9, 31, v8
	v_cndmask_b32_e64 v0, 0, 1, s[0:1]
	v_add_u32_e32 v21, v20, v18
	v_cmp_gt_i32_e64 s[8:9], s17, v8
	v_lshl_add_u64 v[10:11], v[8:9], 3, s[4:5]
	s_mov_b32 s26, s21
	s_mov_b32 s27, s20
	v_cmp_ne_u32_e64 s[4:5], 1, v0
	v_add_u32_e32 v9, 0x800, v20
	v_add_u32_e32 v22, 0x1000, v20
	;; [unrolled: 1-line block ×3, first 2 shown]
	s_branch .LBB45_4
.LBB45_3:                               ;   in Loop: Header=BB45_4 Depth=1
	s_add_i32 s3, s3, s2
	s_cmp_gt_i32 s3, s19
	s_cbranch_scc1 .LBB45_13
.LBB45_4:                               ; =>This Loop Header: Depth=1
                                        ;     Child Loop BB45_7 Depth 2
	s_and_b64 vcc, exec, s[4:5]
	s_cbranch_vccnz .LBB45_3
; %bb.5:                                ;   in Loop: Header=BB45_4 Depth=1
	v_lshl_add_u32 v2, s3, 5, v17
	v_ashrrev_i32_e32 v3, 31, v2
	v_mul_lo_u32 v4, s10, v3
	v_mul_lo_u32 v5, s11, v2
	v_mad_u64_u32 v[0:1], s[0:1], s10, v2, 0
	v_add3_u32 v1, v1, v4, v5
	v_lshl_add_u64 v[12:13], v[0:1], 3, s[24:25]
	v_mul_lo_u32 v3, s22, v3
	v_mul_lo_u32 v4, s23, v2
	v_mad_u64_u32 v[0:1], s[0:1], s22, v2, 0
	v_cmp_gt_i32_e32 vcc, s18, v2
	v_add3_u32 v1, v1, v3, v4
	s_and_b64 s[28:29], s[8:9], vcc
	v_lshl_add_u64 v[14:15], v[0:1], 3, v[10:11]
	s_mov_b32 s16, 0
	s_branch .LBB45_7
.LBB45_6:                               ;   in Loop: Header=BB45_7 Depth=2
	s_or_b64 exec, exec, s[0:1]
	s_add_i32 s16, s16, 32
	s_cmp_ge_i32 s16, s17
	s_waitcnt lgkmcnt(0)
	s_barrier
	s_cbranch_scc1 .LBB45_3
.LBB45_7:                               ;   Parent Loop BB45_4 Depth=1
                                        ; =>  This Inner Loop Header: Depth=2
	v_add_u32_e32 v0, s16, v17
	v_cndmask_b32_e64 v1, v0, v8, s[6:7]
	v_cndmask_b32_e64 v2, v8, v0, s[6:7]
	v_cmp_gt_i32_e64 s[0:1], v1, v2
	v_mov_b32_e32 v4, 0
	v_mov_b32_e32 v5, 0
	v_cndmask_b32_e64 v2, v8, v0, s[0:1]
	v_cndmask_b32_e64 v1, v0, v8, s[0:1]
	v_max_i32_e32 v0, v2, v1
	v_cmp_gt_i32_e64 s[0:1], s17, v0
	v_mov_b32_e32 v0, 0
	s_and_saveexec_b64 s[30:31], s[0:1]
	s_cbranch_execz .LBB45_9
; %bb.8:                                ;   in Loop: Header=BB45_7 Depth=2
	v_ashrrev_i32_e32 v3, 31, v1
	v_mul_lo_u32 v6, s15, v1
	v_mul_lo_u32 v3, s14, v3
	v_mad_u64_u32 v[4:5], s[0:1], s14, v1, 0
	v_add3_u32 v5, v5, v3, v6
	v_ashrrev_i32_e32 v3, 31, v2
	v_lshl_add_u64 v[4:5], v[4:5], 3, s[12:13]
	v_lshl_add_u64 v[2:3], v[2:3], 3, v[4:5]
	flat_load_dwordx2 v[4:5], v[2:3]
.LBB45_9:                               ;   in Loop: Header=BB45_7 Depth=2
	s_or_b64 exec, exec, s[30:31]
	v_add_u32_e32 v2, s16, v16
	v_cmp_gt_i32_e64 s[0:1], s17, v2
	s_and_b64 s[30:31], s[0:1], vcc
	v_mov_b32_e32 v1, 0
	s_waitcnt vmcnt(0) lgkmcnt(0)
	ds_write_b64 v19, v[4:5]
	s_and_saveexec_b64 s[0:1], s[30:31]
	s_cbranch_execz .LBB45_11
; %bb.10:                               ;   in Loop: Header=BB45_7 Depth=2
	v_ashrrev_i32_e32 v3, 31, v2
	v_lshl_add_u64 v[0:1], v[2:3], 3, v[12:13]
	flat_load_dwordx2 v[0:1], v[0:1]
.LBB45_11:                              ;   in Loop: Header=BB45_7 Depth=2
	s_or_b64 exec, exec, s[0:1]
	s_waitcnt vmcnt(0) lgkmcnt(0)
	ds_write_b64 v21, v[0:1]
	s_waitcnt lgkmcnt(0)
	s_barrier
	s_and_saveexec_b64 s[0:1], s[28:29]
	s_cbranch_execz .LBB45_6
; %bb.12:                               ;   in Loop: Header=BB45_7 Depth=2
	ds_read2_b64 v[0:3], v20 offset1:32
	ds_read_b128 v[4:7], v18
	ds_read_b128 v[24:27], v18 offset:16
	ds_read_b128 v[28:31], v18 offset:32
	;; [unrolled: 1-line block ×3, first 2 shown]
	s_waitcnt lgkmcnt(3)
	v_mul_f32_e32 v36, v1, v5
	v_fma_f32 v36, v0, v4, -v36
	v_mul_f32_e32 v0, v0, v5
	v_fmac_f32_e32 v0, v1, v4
	v_add_f32_e32 v1, 0, v36
	ds_read2_b64 v[36:39], v20 offset0:64 offset1:96
	v_mul_f32_e32 v4, v3, v7
	v_fma_f32 v4, v2, v6, -v4
	v_mul_f32_e32 v2, v2, v7
	v_add_f32_e32 v0, 0, v0
	v_fmac_f32_e32 v2, v3, v6
	s_waitcnt lgkmcnt(0)
	v_mul_f32_e32 v3, v36, v25
	v_add_f32_e32 v0, v0, v2
	v_mul_f32_e32 v2, v37, v25
	v_fmac_f32_e32 v3, v37, v24
	v_add_f32_e32 v1, v1, v4
	v_fma_f32 v2, v36, v24, -v2
	v_add_f32_e32 v5, v0, v3
	v_mul_f32_e32 v0, v39, v27
	v_add_f32_e32 v4, v1, v2
	v_fma_f32 v6, v38, v26, -v0
	ds_read2_b64 v[0:3], v20 offset0:128 offset1:160
	v_mul_f32_e32 v7, v38, v27
	v_add_f32_e32 v4, v4, v6
	v_fmac_f32_e32 v7, v39, v26
	v_add_f32_e32 v5, v5, v7
	s_waitcnt lgkmcnt(0)
	v_mul_f32_e32 v6, v1, v29
	v_fma_f32 v6, v0, v28, -v6
	v_mul_f32_e32 v0, v0, v29
	v_fmac_f32_e32 v0, v1, v28
	v_add_f32_e32 v1, v4, v6
	v_mul_f32_e32 v4, v3, v31
	v_add_f32_e32 v0, v5, v0
	v_fma_f32 v24, v2, v30, -v4
	ds_read2_b64 v[4:7], v20 offset0:192 offset1:224
	v_mul_f32_e32 v2, v2, v31
	v_fmac_f32_e32 v2, v3, v30
	v_add_f32_e32 v0, v0, v2
	v_add_f32_e32 v1, v1, v24
	s_waitcnt lgkmcnt(0)
	v_mul_f32_e32 v3, v4, v33
	v_mul_f32_e32 v2, v5, v33
	v_fmac_f32_e32 v3, v5, v32
	v_fma_f32 v2, v4, v32, -v2
	v_add_f32_e32 v5, v0, v3
	v_mul_f32_e32 v0, v7, v35
	v_add_f32_e32 v4, v1, v2
	v_fma_f32 v28, v6, v34, -v0
	ds_read_b128 v[0:3], v18 offset:64
	ds_read2_b64 v[24:27], v9 offset1:32
	v_mul_f32_e32 v6, v6, v35
	v_fmac_f32_e32 v6, v7, v34
	v_add_f32_e32 v28, v4, v28
	v_add_f32_e32 v29, v5, v6
	s_waitcnt lgkmcnt(0)
	v_mul_f32_e32 v30, v25, v1
	v_mul_f32_e32 v1, v24, v1
	v_fma_f32 v30, v24, v0, -v30
	v_fmac_f32_e32 v1, v25, v0
	ds_read_b128 v[4:7], v18 offset:80
	v_add_f32_e32 v0, v28, v30
	v_add_f32_e32 v1, v29, v1
	ds_read2_b64 v[28:31], v9 offset0:64 offset1:96
	v_mul_f32_e32 v24, v27, v3
	v_mul_f32_e32 v3, v26, v3
	v_fma_f32 v24, v26, v2, -v24
	v_fmac_f32_e32 v3, v27, v2
	s_waitcnt lgkmcnt(0)
	v_mul_f32_e32 v2, v29, v5
	v_add_f32_e32 v0, v0, v24
	v_add_f32_e32 v1, v1, v3
	v_fma_f32 v2, v28, v4, -v2
	v_mul_f32_e32 v3, v28, v5
	v_fmac_f32_e32 v3, v29, v4
	v_add_f32_e32 v4, v0, v2
	v_mul_f32_e32 v0, v31, v7
	v_add_f32_e32 v5, v1, v3
	v_fma_f32 v28, v30, v6, -v0
	ds_read_b128 v[0:3], v18 offset:96
	ds_read2_b64 v[24:27], v9 offset0:128 offset1:160
	v_mul_f32_e32 v7, v30, v7
	v_fmac_f32_e32 v7, v31, v6
	v_add_f32_e32 v28, v4, v28
	v_add_f32_e32 v29, v5, v7
	s_waitcnt lgkmcnt(0)
	v_mul_f32_e32 v30, v25, v1
	v_mul_f32_e32 v1, v24, v1
	v_fma_f32 v30, v24, v0, -v30
	v_fmac_f32_e32 v1, v25, v0
	ds_read_b128 v[4:7], v18 offset:112
	v_add_f32_e32 v0, v28, v30
	v_add_f32_e32 v1, v29, v1
	ds_read2_b64 v[28:31], v9 offset0:192 offset1:224
	v_mul_f32_e32 v24, v27, v3
	v_mul_f32_e32 v3, v26, v3
	v_fma_f32 v24, v26, v2, -v24
	v_fmac_f32_e32 v3, v27, v2
	s_waitcnt lgkmcnt(0)
	v_mul_f32_e32 v2, v29, v5
	v_add_f32_e32 v0, v0, v24
	v_add_f32_e32 v1, v1, v3
	v_fma_f32 v2, v28, v4, -v2
	v_mul_f32_e32 v3, v28, v5
	v_fmac_f32_e32 v3, v29, v4
	v_add_f32_e32 v4, v0, v2
	v_mul_f32_e32 v0, v31, v7
	v_add_f32_e32 v5, v1, v3
	v_fma_f32 v28, v30, v6, -v0
	ds_read_b128 v[0:3], v18 offset:128
	ds_read2_b64 v[24:27], v22 offset1:32
	v_mul_f32_e32 v7, v30, v7
	v_fmac_f32_e32 v7, v31, v6
	v_add_f32_e32 v4, v4, v28
	ds_read_b128 v[28:31], v18 offset:144
	ds_read2_b64 v[32:35], v22 offset0:64 offset1:96
	s_waitcnt lgkmcnt(2)
	v_mul_f32_e32 v6, v25, v1
	v_fma_f32 v6, v24, v0, -v6
	v_mul_f32_e32 v1, v24, v1
	v_add_f32_e32 v5, v5, v7
	v_fmac_f32_e32 v1, v25, v0
	v_add_f32_e32 v0, v4, v6
	v_mul_f32_e32 v4, v27, v3
	v_mul_f32_e32 v3, v26, v3
	v_add_f32_e32 v1, v5, v1
	v_fma_f32 v4, v26, v2, -v4
	v_fmac_f32_e32 v3, v27, v2
	s_waitcnt lgkmcnt(0)
	v_mul_f32_e32 v2, v33, v29
	v_add_f32_e32 v0, v0, v4
	v_add_f32_e32 v1, v1, v3
	v_fma_f32 v2, v32, v28, -v2
	v_mul_f32_e32 v3, v32, v29
	v_fmac_f32_e32 v3, v33, v28
	v_add_f32_e32 v24, v0, v2
	v_mul_f32_e32 v0, v35, v31
	v_add_f32_e32 v25, v1, v3
	v_fma_f32 v26, v34, v30, -v0
	ds_read_b128 v[0:3], v18 offset:160
	ds_read2_b64 v[4:7], v22 offset0:128 offset1:160
	flat_load_dwordx2 v[32:33], v[14:15]
	v_mul_f32_e32 v27, v34, v31
	v_fmac_f32_e32 v27, v35, v30
	v_add_f32_e32 v28, v24, v26
	s_waitcnt lgkmcnt(0)
	v_mul_f32_e32 v30, v5, v1
	v_mul_f32_e32 v1, v4, v1
	v_add_f32_e32 v29, v25, v27
	v_fma_f32 v30, v4, v0, -v30
	v_fmac_f32_e32 v1, v5, v0
	ds_read_b128 v[24:27], v18 offset:176
	v_add_f32_e32 v0, v28, v30
	v_add_f32_e32 v1, v29, v1
	ds_read2_b64 v[28:31], v22 offset0:192 offset1:224
	v_mul_f32_e32 v4, v7, v3
	v_mul_f32_e32 v3, v6, v3
	v_fma_f32 v4, v6, v2, -v4
	v_fmac_f32_e32 v3, v7, v2
	s_waitcnt lgkmcnt(0)
	v_mul_f32_e32 v2, v29, v25
	v_add_f32_e32 v0, v0, v4
	v_add_f32_e32 v1, v1, v3
	v_fma_f32 v2, v28, v24, -v2
	v_mul_f32_e32 v3, v28, v25
	v_fmac_f32_e32 v3, v29, v24
	v_add_f32_e32 v24, v0, v2
	v_mul_f32_e32 v0, v31, v27
	v_add_f32_e32 v25, v1, v3
	v_fma_f32 v28, v30, v26, -v0
	ds_read_b128 v[0:3], v18 offset:192
	ds_read2_b64 v[4:7], v23 offset1:32
	v_mul_f32_e32 v27, v30, v27
	v_fmac_f32_e32 v27, v31, v26
	v_add_f32_e32 v28, v24, v28
	v_add_f32_e32 v29, v25, v27
	s_waitcnt lgkmcnt(0)
	v_mul_f32_e32 v30, v5, v1
	v_mul_f32_e32 v1, v4, v1
	v_fma_f32 v30, v4, v0, -v30
	v_fmac_f32_e32 v1, v5, v0
	ds_read_b128 v[24:27], v18 offset:208
	v_add_f32_e32 v0, v28, v30
	v_add_f32_e32 v1, v29, v1
	ds_read2_b64 v[28:31], v23 offset0:64 offset1:96
	v_mul_f32_e32 v4, v7, v3
	v_mul_f32_e32 v3, v6, v3
	v_fma_f32 v4, v6, v2, -v4
	v_fmac_f32_e32 v3, v7, v2
	s_waitcnt lgkmcnt(0)
	v_mul_f32_e32 v2, v29, v25
	v_add_f32_e32 v0, v0, v4
	v_add_f32_e32 v1, v1, v3
	v_fma_f32 v2, v28, v24, -v2
	v_mul_f32_e32 v3, v28, v25
	v_fmac_f32_e32 v3, v29, v24
	v_add_f32_e32 v24, v0, v2
	v_mul_f32_e32 v0, v31, v27
	v_add_f32_e32 v25, v1, v3
	v_fma_f32 v28, v30, v26, -v0
	ds_read_b128 v[0:3], v18 offset:224
	ds_read2_b64 v[4:7], v23 offset0:128 offset1:160
	v_mul_f32_e32 v27, v30, v27
	v_fmac_f32_e32 v27, v31, v26
	v_add_f32_e32 v28, v24, v28
	v_add_f32_e32 v29, v25, v27
	s_waitcnt lgkmcnt(0)
	v_mul_f32_e32 v30, v5, v1
	v_mul_f32_e32 v1, v4, v1
	v_fma_f32 v30, v4, v0, -v30
	v_fmac_f32_e32 v1, v5, v0
	ds_read_b128 v[24:27], v18 offset:240
	v_add_f32_e32 v0, v28, v30
	v_add_f32_e32 v1, v29, v1
	ds_read2_b64 v[28:31], v23 offset0:192 offset1:224
	v_mul_f32_e32 v4, v7, v3
	v_mul_f32_e32 v3, v6, v3
	v_fmac_f32_e32 v3, v7, v2
	v_fma_f32 v4, v6, v2, -v4
	v_add_f32_e32 v1, v1, v3
	s_waitcnt lgkmcnt(0)
	v_mul_f32_e32 v2, v29, v25
	v_mul_f32_e32 v3, v28, v25
	v_add_f32_e32 v0, v0, v4
	v_fma_f32 v2, v28, v24, -v2
	v_fmac_f32_e32 v3, v29, v24
	v_add_f32_e32 v0, v0, v2
	v_add_f32_e32 v1, v1, v3
	v_mul_f32_e32 v2, v31, v27
	v_mul_f32_e32 v3, v30, v27
	v_fma_f32 v2, v30, v26, -v2
	v_fmac_f32_e32 v3, v31, v26
	v_add_f32_e32 v0, v0, v2
	v_add_f32_e32 v2, v1, v3
	v_pk_mul_f32 v[2:3], s[26:27], v[2:3] op_sel_hi:[1,0]
	s_nop 0
	v_pk_fma_f32 v[4:5], s[20:21], v[0:1], v[2:3] neg_lo:[0,0,1] neg_hi:[0,0,1]
	v_pk_fma_f32 v[0:1], s[20:21], v[0:1], v[2:3] op_sel_hi:[1,0,1]
	s_nop 0
	v_mov_b32_e32 v5, v1
	s_waitcnt vmcnt(0)
	v_pk_add_f32 v[0:1], v[32:33], v[4:5]
	flat_store_dwordx2 v[14:15], v[0:1]
	s_branch .LBB45_6
.LBB45_13:
	s_endpgm
	.section	.rodata,"a",@progbits
	.p2align	6, 0x0
	.amdhsa_kernel _ZL24rocblas_symm_hemm_kernelILb0ELb0ELi32EPK19rocblas_complex_numIfEPKS3_PKPS1_EvbiiT2_T3_lllSA_lllT4_llli
		.amdhsa_group_segment_fixed_size 16384
		.amdhsa_private_segment_fixed_size 0
		.amdhsa_kernarg_size 384
		.amdhsa_user_sgpr_count 2
		.amdhsa_user_sgpr_dispatch_ptr 0
		.amdhsa_user_sgpr_queue_ptr 0
		.amdhsa_user_sgpr_kernarg_segment_ptr 1
		.amdhsa_user_sgpr_dispatch_id 0
		.amdhsa_user_sgpr_kernarg_preload_length 0
		.amdhsa_user_sgpr_kernarg_preload_offset 0
		.amdhsa_user_sgpr_private_segment_size 0
		.amdhsa_uses_dynamic_stack 0
		.amdhsa_enable_private_segment 0
		.amdhsa_system_sgpr_workgroup_id_x 1
		.amdhsa_system_sgpr_workgroup_id_y 1
		.amdhsa_system_sgpr_workgroup_id_z 1
		.amdhsa_system_sgpr_workgroup_info 0
		.amdhsa_system_vgpr_workitem_id 1
		.amdhsa_next_free_vgpr 40
		.amdhsa_next_free_sgpr 32
		.amdhsa_accum_offset 40
		.amdhsa_reserve_vcc 1
		.amdhsa_float_round_mode_32 0
		.amdhsa_float_round_mode_16_64 0
		.amdhsa_float_denorm_mode_32 3
		.amdhsa_float_denorm_mode_16_64 3
		.amdhsa_dx10_clamp 1
		.amdhsa_ieee_mode 1
		.amdhsa_fp16_overflow 0
		.amdhsa_tg_split 0
		.amdhsa_exception_fp_ieee_invalid_op 0
		.amdhsa_exception_fp_denorm_src 0
		.amdhsa_exception_fp_ieee_div_zero 0
		.amdhsa_exception_fp_ieee_overflow 0
		.amdhsa_exception_fp_ieee_underflow 0
		.amdhsa_exception_fp_ieee_inexact 0
		.amdhsa_exception_int_div_zero 0
	.end_amdhsa_kernel
	.section	.text._ZL24rocblas_symm_hemm_kernelILb0ELb0ELi32EPK19rocblas_complex_numIfEPKS3_PKPS1_EvbiiT2_T3_lllSA_lllT4_llli,"axG",@progbits,_ZL24rocblas_symm_hemm_kernelILb0ELb0ELi32EPK19rocblas_complex_numIfEPKS3_PKPS1_EvbiiT2_T3_lllSA_lllT4_llli,comdat
.Lfunc_end45:
	.size	_ZL24rocblas_symm_hemm_kernelILb0ELb0ELi32EPK19rocblas_complex_numIfEPKS3_PKPS1_EvbiiT2_T3_lllSA_lllT4_llli, .Lfunc_end45-_ZL24rocblas_symm_hemm_kernelILb0ELb0ELi32EPK19rocblas_complex_numIfEPKS3_PKPS1_EvbiiT2_T3_lllSA_lllT4_llli
                                        ; -- End function
	.set _ZL24rocblas_symm_hemm_kernelILb0ELb0ELi32EPK19rocblas_complex_numIfEPKS3_PKPS1_EvbiiT2_T3_lllSA_lllT4_llli.num_vgpr, 40
	.set _ZL24rocblas_symm_hemm_kernelILb0ELb0ELi32EPK19rocblas_complex_numIfEPKS3_PKPS1_EvbiiT2_T3_lllSA_lllT4_llli.num_agpr, 0
	.set _ZL24rocblas_symm_hemm_kernelILb0ELb0ELi32EPK19rocblas_complex_numIfEPKS3_PKPS1_EvbiiT2_T3_lllSA_lllT4_llli.numbered_sgpr, 32
	.set _ZL24rocblas_symm_hemm_kernelILb0ELb0ELi32EPK19rocblas_complex_numIfEPKS3_PKPS1_EvbiiT2_T3_lllSA_lllT4_llli.num_named_barrier, 0
	.set _ZL24rocblas_symm_hemm_kernelILb0ELb0ELi32EPK19rocblas_complex_numIfEPKS3_PKPS1_EvbiiT2_T3_lllSA_lllT4_llli.private_seg_size, 0
	.set _ZL24rocblas_symm_hemm_kernelILb0ELb0ELi32EPK19rocblas_complex_numIfEPKS3_PKPS1_EvbiiT2_T3_lllSA_lllT4_llli.uses_vcc, 1
	.set _ZL24rocblas_symm_hemm_kernelILb0ELb0ELi32EPK19rocblas_complex_numIfEPKS3_PKPS1_EvbiiT2_T3_lllSA_lllT4_llli.uses_flat_scratch, 0
	.set _ZL24rocblas_symm_hemm_kernelILb0ELb0ELi32EPK19rocblas_complex_numIfEPKS3_PKPS1_EvbiiT2_T3_lllSA_lllT4_llli.has_dyn_sized_stack, 0
	.set _ZL24rocblas_symm_hemm_kernelILb0ELb0ELi32EPK19rocblas_complex_numIfEPKS3_PKPS1_EvbiiT2_T3_lllSA_lllT4_llli.has_recursion, 0
	.set _ZL24rocblas_symm_hemm_kernelILb0ELb0ELi32EPK19rocblas_complex_numIfEPKS3_PKPS1_EvbiiT2_T3_lllSA_lllT4_llli.has_indirect_call, 0
	.section	.AMDGPU.csdata,"",@progbits
; Kernel info:
; codeLenInByte = 2048
; TotalNumSgprs: 38
; NumVgprs: 40
; NumAgprs: 0
; TotalNumVgprs: 40
; ScratchSize: 0
; MemoryBound: 0
; FloatMode: 240
; IeeeMode: 1
; LDSByteSize: 16384 bytes/workgroup (compile time only)
; SGPRBlocks: 4
; VGPRBlocks: 4
; NumSGPRsForWavesPerEU: 38
; NumVGPRsForWavesPerEU: 40
; AccumOffset: 40
; Occupancy: 8
; WaveLimiterHint : 1
; COMPUTE_PGM_RSRC2:SCRATCH_EN: 0
; COMPUTE_PGM_RSRC2:USER_SGPR: 2
; COMPUTE_PGM_RSRC2:TRAP_HANDLER: 0
; COMPUTE_PGM_RSRC2:TGID_X_EN: 1
; COMPUTE_PGM_RSRC2:TGID_Y_EN: 1
; COMPUTE_PGM_RSRC2:TGID_Z_EN: 1
; COMPUTE_PGM_RSRC2:TIDIG_COMP_CNT: 1
; COMPUTE_PGM_RSRC3_GFX90A:ACCUM_OFFSET: 9
; COMPUTE_PGM_RSRC3_GFX90A:TG_SPLIT: 0
	.section	.text._ZL24rocblas_symm_hemm_kernelILb0ELb1ELi32EPK19rocblas_complex_numIfEPKS3_PKPS1_EvbiiT2_T3_lllSA_lllT4_llli,"axG",@progbits,_ZL24rocblas_symm_hemm_kernelILb0ELb1ELi32EPK19rocblas_complex_numIfEPKS3_PKPS1_EvbiiT2_T3_lllSA_lllT4_llli,comdat
	.globl	_ZL24rocblas_symm_hemm_kernelILb0ELb1ELi32EPK19rocblas_complex_numIfEPKS3_PKPS1_EvbiiT2_T3_lllSA_lllT4_llli ; -- Begin function _ZL24rocblas_symm_hemm_kernelILb0ELb1ELi32EPK19rocblas_complex_numIfEPKS3_PKPS1_EvbiiT2_T3_lllSA_lllT4_llli
	.p2align	8
	.type	_ZL24rocblas_symm_hemm_kernelILb0ELb1ELi32EPK19rocblas_complex_numIfEPKS3_PKPS1_EvbiiT2_T3_lllSA_lllT4_llli,@function
_ZL24rocblas_symm_hemm_kernelILb0ELb1ELi32EPK19rocblas_complex_numIfEPKS3_PKPS1_EvbiiT2_T3_lllSA_lllT4_llli: ; @_ZL24rocblas_symm_hemm_kernelILb0ELb1ELi32EPK19rocblas_complex_numIfEPKS3_PKPS1_EvbiiT2_T3_lllSA_lllT4_llli
; %bb.0:
	s_load_dwordx8 s[8:15], s[0:1], 0x10
	s_waitcnt lgkmcnt(0)
	s_load_dwordx2 s[20:21], s[8:9], 0x0
	s_waitcnt lgkmcnt(0)
	v_cmp_eq_f32_e64 s[6:7], s20, 0
	v_cmp_eq_f32_e64 s[8:9], s21, 0
	s_and_b64 s[6:7], s[6:7], s[8:9]
	s_and_b64 vcc, exec, s[6:7]
	s_cbranch_vccnz .LBB46_13
; %bb.1:
	s_load_dwordx4 s[16:19], s[0:1], 0x0
	s_waitcnt lgkmcnt(0)
	s_add_i32 s5, s18, -1
	s_ashr_i32 s6, s5, 31
	s_lshr_b32 s6, s6, 27
	s_add_i32 s5, s5, s6
	s_ashr_i32 s19, s5, 5
	s_cmp_gt_i32 s3, s19
	s_cbranch_scc1 .LBB46_13
; %bb.2:
	s_mov_b32 s5, 0
	s_lshl_b64 s[4:5], s[4:5], 3
	s_add_u32 s6, s10, s4
	s_addc_u32 s7, s11, s5
	s_load_dwordx2 s[8:9], s[6:7], 0x0
	s_load_dwordx4 s[24:27], s[0:1], 0x38
	s_load_dwordx2 s[10:11], s[0:1], 0x48
	s_load_dwordx4 s[28:31], s[0:1], 0x58
	s_load_dwordx2 s[22:23], s[0:1], 0x68
	s_lshl_b64 s[6:7], s[12:13], 3
	s_waitcnt lgkmcnt(0)
	s_add_u32 s12, s8, s6
	s_addc_u32 s13, s9, s7
	s_add_u32 s6, s24, s4
	s_addc_u32 s7, s25, s5
	;; [unrolled: 2-line block ×3, first 2 shown]
	s_load_dwordx2 s[8:9], s[4:5], 0x0
	s_load_dwordx2 s[24:25], s[6:7], 0x0
	s_bitcmp1_b32 s16, 0
	s_cselect_b64 s[6:7], -1, 0
	s_lshl_b64 s[4:5], s[30:31], 3
	s_waitcnt lgkmcnt(0)
	s_add_u32 s4, s8, s4
	s_addc_u32 s5, s9, s5
	s_lshl_b64 s[8:9], s[26:27], 3
	v_and_b32_e32 v14, 0x3ff, v0
	s_add_u32 s24, s24, s8
	v_lshl_add_u32 v2, s2, 5, v14
	s_addc_u32 s25, s25, s9
	v_ashrrev_i32_e32 v3, 31, v2
	s_load_dword s2, s[0:1], 0x84
	v_bfe_u32 v15, v0, 10, 10
	s_cmp_gt_i32 s18, 0
	v_lshlrev_b64 v[0:1], 3, v[2:3]
	v_cmp_gt_i32_e64 s[8:9], s17, v2
	v_lshlrev_b32_e32 v2, 3, v15
	v_lshl_add_u64 v[10:11], s[4:5], 0, v[0:1]
	s_cselect_b64 s[4:5], -1, 0
	v_lshl_add_u64 v[8:9], s[24:25], 0, v[0:1]
	v_lshlrev_b32_e32 v16, 8, v14
	v_or_b32_e32 v18, 0x2000, v2
	v_cndmask_b32_e64 v0, 0, 1, s[4:5]
	v_add_u32_e32 v17, v16, v2
	v_add_u32_e32 v19, v18, v16
	s_mov_b32 s0, s21
	s_mov_b32 s1, s20
	v_cmp_ne_u32_e64 s[4:5], 1, v0
	v_add_u32_e32 v20, 0x800, v18
	v_add_u32_e32 v21, 0x1000, v18
	;; [unrolled: 1-line block ×3, first 2 shown]
	s_branch .LBB46_4
.LBB46_3:                               ;   in Loop: Header=BB46_4 Depth=1
	s_waitcnt lgkmcnt(0)
	s_add_i32 s3, s3, s2
	s_cmp_gt_i32 s3, s19
	s_cbranch_scc1 .LBB46_13
.LBB46_4:                               ; =>This Loop Header: Depth=1
                                        ;     Child Loop BB46_7 Depth 2
	s_and_b64 vcc, exec, s[4:5]
	s_cbranch_vccnz .LBB46_3
; %bb.5:                                ;   in Loop: Header=BB46_4 Depth=1
	v_lshl_add_u32 v23, s3, 5, v15
	v_ashrrev_i32_e32 v0, 31, v23
	v_mul_lo_u32 v2, s22, v0
	v_mul_lo_u32 v3, s23, v23
	v_mad_u64_u32 v[0:1], s[24:25], s22, v23, 0
	v_cmp_gt_i32_e32 vcc, s18, v23
	v_add3_u32 v1, v1, v2, v3
	s_and_b64 s[16:17], s[8:9], vcc
	v_lshl_add_u64 v[12:13], v[0:1], 3, v[10:11]
	s_mov_b32 s26, 0
	s_branch .LBB46_7
.LBB46_6:                               ;   in Loop: Header=BB46_7 Depth=2
	s_or_b64 exec, exec, s[24:25]
	s_add_i32 s26, s26, 32
	s_cmp_ge_i32 s26, s18
	s_waitcnt lgkmcnt(0)
	s_barrier
	s_cbranch_scc1 .LBB46_3
.LBB46_7:                               ;   Parent Loop BB46_4 Depth=1
                                        ; =>  This Inner Loop Header: Depth=2
	v_add_u32_e32 v1, s26, v15
	v_cmp_gt_i32_e32 vcc, s18, v1
	s_and_b64 s[28:29], s[8:9], vcc
	v_mov_b32_e32 v0, 0
	v_mov_b32_e32 v2, 0
	;; [unrolled: 1-line block ×3, first 2 shown]
	s_and_saveexec_b64 s[24:25], s[28:29]
	s_cbranch_execz .LBB46_9
; %bb.8:                                ;   in Loop: Header=BB46_7 Depth=2
	v_ashrrev_i32_e32 v2, 31, v1
	v_mul_lo_u32 v4, s11, v1
	v_mul_lo_u32 v5, s10, v2
	v_mad_u64_u32 v[2:3], s[28:29], s10, v1, 0
	v_add3_u32 v3, v3, v5, v4
	v_lshl_add_u64 v[2:3], v[2:3], 3, v[8:9]
	flat_load_dwordx2 v[2:3], v[2:3]
.LBB46_9:                               ;   in Loop: Header=BB46_7 Depth=2
	s_or_b64 exec, exec, s[24:25]
	v_add_u32_e32 v1, s26, v14
	s_waitcnt vmcnt(0) lgkmcnt(0)
	ds_write_b64 v17, v[2:3]
	v_cndmask_b32_e64 v2, v23, v1, s[6:7]
	v_cndmask_b32_e64 v3, v1, v23, s[6:7]
	v_cmp_gt_i32_e32 vcc, v2, v3
	s_nop 1
	v_cndmask_b32_e32 v2, v1, v23, vcc
	v_cndmask_b32_e32 v3, v23, v1, vcc
	v_max_i32_e32 v1, v2, v3
	v_cmp_gt_i32_e32 vcc, s18, v1
	v_mov_b32_e32 v1, 0
	s_and_saveexec_b64 s[24:25], vcc
	s_cbranch_execz .LBB46_11
; %bb.10:                               ;   in Loop: Header=BB46_7 Depth=2
	v_ashrrev_i32_e32 v0, 31, v3
	v_mul_lo_u32 v4, s15, v3
	v_mul_lo_u32 v5, s14, v0
	v_mad_u64_u32 v[0:1], s[28:29], s14, v3, 0
	v_add3_u32 v1, v1, v5, v4
	v_ashrrev_i32_e32 v3, 31, v2
	v_lshl_add_u64 v[0:1], v[0:1], 3, s[12:13]
	v_lshl_add_u64 v[0:1], v[2:3], 3, v[0:1]
	flat_load_dwordx2 v[0:1], v[0:1]
.LBB46_11:                              ;   in Loop: Header=BB46_7 Depth=2
	s_or_b64 exec, exec, s[24:25]
	s_waitcnt vmcnt(0) lgkmcnt(0)
	ds_write_b64 v19, v[0:1]
	s_waitcnt lgkmcnt(0)
	s_barrier
	s_and_saveexec_b64 s[24:25], s[16:17]
	s_cbranch_execz .LBB46_6
; %bb.12:                               ;   in Loop: Header=BB46_7 Depth=2
	ds_read2_b64 v[0:3], v18 offset1:32
	ds_read_b128 v[4:7], v16
	ds_read_b128 v[24:27], v16 offset:16
	ds_read_b128 v[28:31], v16 offset:32
	;; [unrolled: 1-line block ×3, first 2 shown]
	s_waitcnt lgkmcnt(3)
	v_mul_f32_e32 v36, v1, v5
	v_fma_f32 v36, v0, v4, -v36
	v_mul_f32_e32 v0, v0, v5
	v_fmac_f32_e32 v0, v1, v4
	v_add_f32_e32 v1, 0, v36
	ds_read2_b64 v[36:39], v18 offset0:64 offset1:96
	v_mul_f32_e32 v4, v3, v7
	v_fma_f32 v4, v2, v6, -v4
	v_mul_f32_e32 v2, v2, v7
	v_add_f32_e32 v0, 0, v0
	v_fmac_f32_e32 v2, v3, v6
	s_waitcnt lgkmcnt(0)
	v_mul_f32_e32 v3, v36, v25
	v_add_f32_e32 v0, v0, v2
	v_mul_f32_e32 v2, v37, v25
	v_fmac_f32_e32 v3, v37, v24
	v_add_f32_e32 v1, v1, v4
	v_fma_f32 v2, v36, v24, -v2
	v_add_f32_e32 v5, v0, v3
	v_mul_f32_e32 v0, v39, v27
	v_add_f32_e32 v4, v1, v2
	v_fma_f32 v6, v38, v26, -v0
	ds_read2_b64 v[0:3], v18 offset0:128 offset1:160
	v_mul_f32_e32 v7, v38, v27
	v_add_f32_e32 v4, v4, v6
	v_fmac_f32_e32 v7, v39, v26
	v_add_f32_e32 v5, v5, v7
	s_waitcnt lgkmcnt(0)
	v_mul_f32_e32 v6, v1, v29
	v_fma_f32 v6, v0, v28, -v6
	v_mul_f32_e32 v0, v0, v29
	v_fmac_f32_e32 v0, v1, v28
	v_add_f32_e32 v1, v4, v6
	v_mul_f32_e32 v4, v3, v31
	v_add_f32_e32 v0, v5, v0
	v_fma_f32 v24, v2, v30, -v4
	ds_read2_b64 v[4:7], v18 offset0:192 offset1:224
	v_mul_f32_e32 v2, v2, v31
	v_fmac_f32_e32 v2, v3, v30
	v_add_f32_e32 v0, v0, v2
	v_add_f32_e32 v1, v1, v24
	s_waitcnt lgkmcnt(0)
	v_mul_f32_e32 v3, v4, v33
	v_mul_f32_e32 v2, v5, v33
	v_fmac_f32_e32 v3, v5, v32
	v_fma_f32 v2, v4, v32, -v2
	v_add_f32_e32 v5, v0, v3
	v_mul_f32_e32 v0, v7, v35
	v_add_f32_e32 v4, v1, v2
	v_fma_f32 v28, v6, v34, -v0
	ds_read_b128 v[0:3], v16 offset:64
	ds_read2_b64 v[24:27], v20 offset1:32
	v_mul_f32_e32 v6, v6, v35
	v_fmac_f32_e32 v6, v7, v34
	v_add_f32_e32 v28, v4, v28
	v_add_f32_e32 v29, v5, v6
	s_waitcnt lgkmcnt(0)
	v_mul_f32_e32 v30, v25, v1
	v_mul_f32_e32 v1, v24, v1
	v_fma_f32 v30, v24, v0, -v30
	v_fmac_f32_e32 v1, v25, v0
	ds_read_b128 v[4:7], v16 offset:80
	v_add_f32_e32 v0, v28, v30
	v_add_f32_e32 v1, v29, v1
	ds_read2_b64 v[28:31], v20 offset0:64 offset1:96
	v_mul_f32_e32 v24, v27, v3
	v_mul_f32_e32 v3, v26, v3
	v_fma_f32 v24, v26, v2, -v24
	v_fmac_f32_e32 v3, v27, v2
	s_waitcnt lgkmcnt(0)
	v_mul_f32_e32 v2, v29, v5
	v_add_f32_e32 v0, v0, v24
	v_add_f32_e32 v1, v1, v3
	v_fma_f32 v2, v28, v4, -v2
	v_mul_f32_e32 v3, v28, v5
	v_fmac_f32_e32 v3, v29, v4
	v_add_f32_e32 v4, v0, v2
	v_mul_f32_e32 v0, v31, v7
	v_add_f32_e32 v5, v1, v3
	v_fma_f32 v28, v30, v6, -v0
	ds_read_b128 v[0:3], v16 offset:96
	ds_read2_b64 v[24:27], v20 offset0:128 offset1:160
	v_mul_f32_e32 v7, v30, v7
	v_fmac_f32_e32 v7, v31, v6
	v_add_f32_e32 v28, v4, v28
	v_add_f32_e32 v29, v5, v7
	s_waitcnt lgkmcnt(0)
	v_mul_f32_e32 v30, v25, v1
	v_mul_f32_e32 v1, v24, v1
	v_fma_f32 v30, v24, v0, -v30
	v_fmac_f32_e32 v1, v25, v0
	ds_read_b128 v[4:7], v16 offset:112
	v_add_f32_e32 v0, v28, v30
	v_add_f32_e32 v1, v29, v1
	ds_read2_b64 v[28:31], v20 offset0:192 offset1:224
	v_mul_f32_e32 v24, v27, v3
	v_mul_f32_e32 v3, v26, v3
	v_fma_f32 v24, v26, v2, -v24
	v_fmac_f32_e32 v3, v27, v2
	s_waitcnt lgkmcnt(0)
	v_mul_f32_e32 v2, v29, v5
	v_add_f32_e32 v0, v0, v24
	v_add_f32_e32 v1, v1, v3
	v_fma_f32 v2, v28, v4, -v2
	v_mul_f32_e32 v3, v28, v5
	v_fmac_f32_e32 v3, v29, v4
	v_add_f32_e32 v4, v0, v2
	v_mul_f32_e32 v0, v31, v7
	v_add_f32_e32 v5, v1, v3
	v_fma_f32 v28, v30, v6, -v0
	ds_read_b128 v[0:3], v16 offset:128
	ds_read2_b64 v[24:27], v21 offset1:32
	v_mul_f32_e32 v7, v30, v7
	v_fmac_f32_e32 v7, v31, v6
	v_add_f32_e32 v4, v4, v28
	ds_read_b128 v[28:31], v16 offset:144
	ds_read2_b64 v[32:35], v21 offset0:64 offset1:96
	s_waitcnt lgkmcnt(2)
	v_mul_f32_e32 v6, v25, v1
	v_fma_f32 v6, v24, v0, -v6
	v_mul_f32_e32 v1, v24, v1
	v_add_f32_e32 v5, v5, v7
	v_fmac_f32_e32 v1, v25, v0
	v_add_f32_e32 v0, v4, v6
	v_mul_f32_e32 v4, v27, v3
	v_mul_f32_e32 v3, v26, v3
	v_add_f32_e32 v1, v5, v1
	v_fma_f32 v4, v26, v2, -v4
	v_fmac_f32_e32 v3, v27, v2
	s_waitcnt lgkmcnt(0)
	v_mul_f32_e32 v2, v33, v29
	v_add_f32_e32 v0, v0, v4
	v_add_f32_e32 v1, v1, v3
	v_fma_f32 v2, v32, v28, -v2
	v_mul_f32_e32 v3, v32, v29
	v_fmac_f32_e32 v3, v33, v28
	v_add_f32_e32 v24, v0, v2
	v_mul_f32_e32 v0, v35, v31
	v_add_f32_e32 v25, v1, v3
	v_fma_f32 v26, v34, v30, -v0
	ds_read_b128 v[0:3], v16 offset:160
	ds_read2_b64 v[4:7], v21 offset0:128 offset1:160
	flat_load_dwordx2 v[32:33], v[12:13]
	v_mul_f32_e32 v27, v34, v31
	v_fmac_f32_e32 v27, v35, v30
	v_add_f32_e32 v28, v24, v26
	s_waitcnt lgkmcnt(0)
	v_mul_f32_e32 v30, v5, v1
	v_mul_f32_e32 v1, v4, v1
	v_add_f32_e32 v29, v25, v27
	v_fma_f32 v30, v4, v0, -v30
	v_fmac_f32_e32 v1, v5, v0
	ds_read_b128 v[24:27], v16 offset:176
	v_add_f32_e32 v0, v28, v30
	v_add_f32_e32 v1, v29, v1
	ds_read2_b64 v[28:31], v21 offset0:192 offset1:224
	v_mul_f32_e32 v4, v7, v3
	v_mul_f32_e32 v3, v6, v3
	v_fma_f32 v4, v6, v2, -v4
	v_fmac_f32_e32 v3, v7, v2
	s_waitcnt lgkmcnt(0)
	v_mul_f32_e32 v2, v29, v25
	v_add_f32_e32 v0, v0, v4
	v_add_f32_e32 v1, v1, v3
	v_fma_f32 v2, v28, v24, -v2
	v_mul_f32_e32 v3, v28, v25
	v_fmac_f32_e32 v3, v29, v24
	v_add_f32_e32 v24, v0, v2
	v_mul_f32_e32 v0, v31, v27
	v_add_f32_e32 v25, v1, v3
	v_fma_f32 v28, v30, v26, -v0
	ds_read_b128 v[0:3], v16 offset:192
	ds_read2_b64 v[4:7], v22 offset1:32
	v_mul_f32_e32 v27, v30, v27
	v_fmac_f32_e32 v27, v31, v26
	v_add_f32_e32 v28, v24, v28
	v_add_f32_e32 v29, v25, v27
	s_waitcnt lgkmcnt(0)
	v_mul_f32_e32 v30, v5, v1
	v_mul_f32_e32 v1, v4, v1
	v_fma_f32 v30, v4, v0, -v30
	v_fmac_f32_e32 v1, v5, v0
	ds_read_b128 v[24:27], v16 offset:208
	v_add_f32_e32 v0, v28, v30
	v_add_f32_e32 v1, v29, v1
	ds_read2_b64 v[28:31], v22 offset0:64 offset1:96
	v_mul_f32_e32 v4, v7, v3
	v_mul_f32_e32 v3, v6, v3
	v_fma_f32 v4, v6, v2, -v4
	v_fmac_f32_e32 v3, v7, v2
	s_waitcnt lgkmcnt(0)
	v_mul_f32_e32 v2, v29, v25
	v_add_f32_e32 v0, v0, v4
	v_add_f32_e32 v1, v1, v3
	v_fma_f32 v2, v28, v24, -v2
	v_mul_f32_e32 v3, v28, v25
	v_fmac_f32_e32 v3, v29, v24
	v_add_f32_e32 v24, v0, v2
	v_mul_f32_e32 v0, v31, v27
	v_add_f32_e32 v25, v1, v3
	v_fma_f32 v28, v30, v26, -v0
	ds_read_b128 v[0:3], v16 offset:224
	ds_read2_b64 v[4:7], v22 offset0:128 offset1:160
	v_mul_f32_e32 v27, v30, v27
	v_fmac_f32_e32 v27, v31, v26
	v_add_f32_e32 v28, v24, v28
	v_add_f32_e32 v29, v25, v27
	s_waitcnt lgkmcnt(0)
	v_mul_f32_e32 v30, v5, v1
	v_mul_f32_e32 v1, v4, v1
	v_fma_f32 v30, v4, v0, -v30
	v_fmac_f32_e32 v1, v5, v0
	ds_read_b128 v[24:27], v16 offset:240
	v_add_f32_e32 v0, v28, v30
	v_add_f32_e32 v1, v29, v1
	ds_read2_b64 v[28:31], v22 offset0:192 offset1:224
	v_mul_f32_e32 v4, v7, v3
	v_mul_f32_e32 v3, v6, v3
	v_fmac_f32_e32 v3, v7, v2
	v_fma_f32 v4, v6, v2, -v4
	v_add_f32_e32 v1, v1, v3
	s_waitcnt lgkmcnt(0)
	v_mul_f32_e32 v2, v29, v25
	v_mul_f32_e32 v3, v28, v25
	v_add_f32_e32 v0, v0, v4
	v_fma_f32 v2, v28, v24, -v2
	v_fmac_f32_e32 v3, v29, v24
	v_add_f32_e32 v0, v0, v2
	v_add_f32_e32 v1, v1, v3
	v_mul_f32_e32 v2, v31, v27
	v_mul_f32_e32 v3, v30, v27
	v_fma_f32 v2, v30, v26, -v2
	v_fmac_f32_e32 v3, v31, v26
	v_add_f32_e32 v0, v0, v2
	v_add_f32_e32 v2, v1, v3
	v_pk_mul_f32 v[2:3], s[0:1], v[2:3] op_sel_hi:[1,0]
	s_nop 0
	v_pk_fma_f32 v[4:5], s[20:21], v[0:1], v[2:3] neg_lo:[0,0,1] neg_hi:[0,0,1]
	v_pk_fma_f32 v[0:1], s[20:21], v[0:1], v[2:3] op_sel_hi:[1,0,1]
	s_nop 0
	v_mov_b32_e32 v5, v1
	s_waitcnt vmcnt(0)
	v_pk_add_f32 v[0:1], v[32:33], v[4:5]
	flat_store_dwordx2 v[12:13], v[0:1]
	s_branch .LBB46_6
.LBB46_13:
	s_endpgm
	.section	.rodata,"a",@progbits
	.p2align	6, 0x0
	.amdhsa_kernel _ZL24rocblas_symm_hemm_kernelILb0ELb1ELi32EPK19rocblas_complex_numIfEPKS3_PKPS1_EvbiiT2_T3_lllSA_lllT4_llli
		.amdhsa_group_segment_fixed_size 16384
		.amdhsa_private_segment_fixed_size 0
		.amdhsa_kernarg_size 384
		.amdhsa_user_sgpr_count 2
		.amdhsa_user_sgpr_dispatch_ptr 0
		.amdhsa_user_sgpr_queue_ptr 0
		.amdhsa_user_sgpr_kernarg_segment_ptr 1
		.amdhsa_user_sgpr_dispatch_id 0
		.amdhsa_user_sgpr_kernarg_preload_length 0
		.amdhsa_user_sgpr_kernarg_preload_offset 0
		.amdhsa_user_sgpr_private_segment_size 0
		.amdhsa_uses_dynamic_stack 0
		.amdhsa_enable_private_segment 0
		.amdhsa_system_sgpr_workgroup_id_x 1
		.amdhsa_system_sgpr_workgroup_id_y 1
		.amdhsa_system_sgpr_workgroup_id_z 1
		.amdhsa_system_sgpr_workgroup_info 0
		.amdhsa_system_vgpr_workitem_id 1
		.amdhsa_next_free_vgpr 40
		.amdhsa_next_free_sgpr 32
		.amdhsa_accum_offset 40
		.amdhsa_reserve_vcc 1
		.amdhsa_float_round_mode_32 0
		.amdhsa_float_round_mode_16_64 0
		.amdhsa_float_denorm_mode_32 3
		.amdhsa_float_denorm_mode_16_64 3
		.amdhsa_dx10_clamp 1
		.amdhsa_ieee_mode 1
		.amdhsa_fp16_overflow 0
		.amdhsa_tg_split 0
		.amdhsa_exception_fp_ieee_invalid_op 0
		.amdhsa_exception_fp_denorm_src 0
		.amdhsa_exception_fp_ieee_div_zero 0
		.amdhsa_exception_fp_ieee_overflow 0
		.amdhsa_exception_fp_ieee_underflow 0
		.amdhsa_exception_fp_ieee_inexact 0
		.amdhsa_exception_int_div_zero 0
	.end_amdhsa_kernel
	.section	.text._ZL24rocblas_symm_hemm_kernelILb0ELb1ELi32EPK19rocblas_complex_numIfEPKS3_PKPS1_EvbiiT2_T3_lllSA_lllT4_llli,"axG",@progbits,_ZL24rocblas_symm_hemm_kernelILb0ELb1ELi32EPK19rocblas_complex_numIfEPKS3_PKPS1_EvbiiT2_T3_lllSA_lllT4_llli,comdat
.Lfunc_end46:
	.size	_ZL24rocblas_symm_hemm_kernelILb0ELb1ELi32EPK19rocblas_complex_numIfEPKS3_PKPS1_EvbiiT2_T3_lllSA_lllT4_llli, .Lfunc_end46-_ZL24rocblas_symm_hemm_kernelILb0ELb1ELi32EPK19rocblas_complex_numIfEPKS3_PKPS1_EvbiiT2_T3_lllSA_lllT4_llli
                                        ; -- End function
	.set _ZL24rocblas_symm_hemm_kernelILb0ELb1ELi32EPK19rocblas_complex_numIfEPKS3_PKPS1_EvbiiT2_T3_lllSA_lllT4_llli.num_vgpr, 40
	.set _ZL24rocblas_symm_hemm_kernelILb0ELb1ELi32EPK19rocblas_complex_numIfEPKS3_PKPS1_EvbiiT2_T3_lllSA_lllT4_llli.num_agpr, 0
	.set _ZL24rocblas_symm_hemm_kernelILb0ELb1ELi32EPK19rocblas_complex_numIfEPKS3_PKPS1_EvbiiT2_T3_lllSA_lllT4_llli.numbered_sgpr, 32
	.set _ZL24rocblas_symm_hemm_kernelILb0ELb1ELi32EPK19rocblas_complex_numIfEPKS3_PKPS1_EvbiiT2_T3_lllSA_lllT4_llli.num_named_barrier, 0
	.set _ZL24rocblas_symm_hemm_kernelILb0ELb1ELi32EPK19rocblas_complex_numIfEPKS3_PKPS1_EvbiiT2_T3_lllSA_lllT4_llli.private_seg_size, 0
	.set _ZL24rocblas_symm_hemm_kernelILb0ELb1ELi32EPK19rocblas_complex_numIfEPKS3_PKPS1_EvbiiT2_T3_lllSA_lllT4_llli.uses_vcc, 1
	.set _ZL24rocblas_symm_hemm_kernelILb0ELb1ELi32EPK19rocblas_complex_numIfEPKS3_PKPS1_EvbiiT2_T3_lllSA_lllT4_llli.uses_flat_scratch, 0
	.set _ZL24rocblas_symm_hemm_kernelILb0ELb1ELi32EPK19rocblas_complex_numIfEPKS3_PKPS1_EvbiiT2_T3_lllSA_lllT4_llli.has_dyn_sized_stack, 0
	.set _ZL24rocblas_symm_hemm_kernelILb0ELb1ELi32EPK19rocblas_complex_numIfEPKS3_PKPS1_EvbiiT2_T3_lllSA_lllT4_llli.has_recursion, 0
	.set _ZL24rocblas_symm_hemm_kernelILb0ELb1ELi32EPK19rocblas_complex_numIfEPKS3_PKPS1_EvbiiT2_T3_lllSA_lllT4_llli.has_indirect_call, 0
	.section	.AMDGPU.csdata,"",@progbits
; Kernel info:
; codeLenInByte = 2040
; TotalNumSgprs: 38
; NumVgprs: 40
; NumAgprs: 0
; TotalNumVgprs: 40
; ScratchSize: 0
; MemoryBound: 0
; FloatMode: 240
; IeeeMode: 1
; LDSByteSize: 16384 bytes/workgroup (compile time only)
; SGPRBlocks: 4
; VGPRBlocks: 4
; NumSGPRsForWavesPerEU: 38
; NumVGPRsForWavesPerEU: 40
; AccumOffset: 40
; Occupancy: 8
; WaveLimiterHint : 1
; COMPUTE_PGM_RSRC2:SCRATCH_EN: 0
; COMPUTE_PGM_RSRC2:USER_SGPR: 2
; COMPUTE_PGM_RSRC2:TRAP_HANDLER: 0
; COMPUTE_PGM_RSRC2:TGID_X_EN: 1
; COMPUTE_PGM_RSRC2:TGID_Y_EN: 1
; COMPUTE_PGM_RSRC2:TGID_Z_EN: 1
; COMPUTE_PGM_RSRC2:TIDIG_COMP_CNT: 1
; COMPUTE_PGM_RSRC3_GFX90A:ACCUM_OFFSET: 9
; COMPUTE_PGM_RSRC3_GFX90A:TG_SPLIT: 0
	.section	.text._ZL25rocblas_symm_scale_kernelILi128ELi8E19rocblas_complex_numIfEPKPS1_EviiT1_T2_llli,"axG",@progbits,_ZL25rocblas_symm_scale_kernelILi128ELi8E19rocblas_complex_numIfEPKPS1_EviiT1_T2_llli,comdat
	.globl	_ZL25rocblas_symm_scale_kernelILi128ELi8E19rocblas_complex_numIfEPKPS1_EviiT1_T2_llli ; -- Begin function _ZL25rocblas_symm_scale_kernelILi128ELi8E19rocblas_complex_numIfEPKPS1_EviiT1_T2_llli
	.p2align	8
	.type	_ZL25rocblas_symm_scale_kernelILi128ELi8E19rocblas_complex_numIfEPKPS1_EviiT1_T2_llli,@function
_ZL25rocblas_symm_scale_kernelILi128ELi8E19rocblas_complex_numIfEPKPS1_EviiT1_T2_llli: ; @_ZL25rocblas_symm_scale_kernelILi128ELi8E19rocblas_complex_numIfEPKPS1_EviiT1_T2_llli
; %bb.0:
	s_load_dwordx4 s[8:11], s[0:1], 0x0
	s_waitcnt lgkmcnt(0)
	v_cmp_eq_f32_e64 s[6:7], s11, 0
	v_cmp_eq_f32_e64 s[12:13], s10, 1.0
	s_and_b64 s[6:7], s[12:13], s[6:7]
	s_and_b64 vcc, exec, s[6:7]
	s_cbranch_vccnz .LBB47_6
; %bb.1:
	v_and_b32_e32 v1, 0x3ff, v0
	v_bfe_u32 v0, v0, 10, 10
	v_lshl_add_u32 v2, s2, 7, v1
	v_lshl_add_u32 v0, s3, 3, v0
	v_mov_b32_e32 v1, 0
	s_ashr_i32 s7, s9, 31
	s_mov_b32 s6, s9
	v_cmp_gt_u32_e32 vcc, s8, v2
	v_cmp_gt_i64_e64 s[2:3], s[6:7], v[0:1]
	s_and_b64 s[2:3], vcc, s[2:3]
	s_and_saveexec_b64 s[8:9], s[2:3]
	s_cbranch_execz .LBB47_6
; %bb.2:
	s_load_dwordx4 s[12:15], s[0:1], 0x10
	s_load_dwordx2 s[8:9], s[0:1], 0x20
	s_mov_b32 s5, 0
	s_lshl_b64 s[2:3], s[4:5], 3
	v_mov_b32_e32 v3, v1
	s_waitcnt lgkmcnt(0)
	s_add_u32 s2, s12, s2
	s_addc_u32 s3, s13, s3
	s_load_dwordx2 s[12:13], s[2:3], 0x0
	s_load_dword s16, s[0:1], 0x3c
	s_or_b32 s4, s10, s11
	s_bitset0_b32 s4, 31
	s_cmp_lg_u32 s4, 0
	s_cselect_b64 s[0:1], -1, 0
	s_waitcnt lgkmcnt(0)
	s_lshl_b32 s4, s16, 3
	v_mad_u64_u32 v[4:5], s[16:17], s8, v0, 0
	v_mov_b32_e32 v6, v5
	v_mad_u64_u32 v[6:7], s[16:17], s9, v0, v[6:7]
	v_mov_b32_e32 v5, v6
	s_lshl_b64 s[14:15], s[14:15], 3
	v_lshl_add_u64 v[4:5], v[4:5], 3, s[14:15]
	v_lshl_add_u64 v[2:3], v[2:3], 3, v[4:5]
	;; [unrolled: 1-line block ×3, first 2 shown]
	s_mul_i32 s9, s9, s4
	s_mul_hi_u32 s12, s8, s4
	s_add_i32 s9, s12, s9
	s_mul_i32 s8, s8, s4
	v_cndmask_b32_e64 v4, 0, 1, s[0:1]
	s_mov_b32 s2, s10
	s_mov_b32 s3, s10
	;; [unrolled: 1-line block ×3, first 2 shown]
	s_lshl_b64 s[8:9], s[8:9], 3
	s_mov_b64 s[12:13], 0
	v_cmp_ne_u32_e64 s[0:1], 1, v4
	s_branch .LBB47_4
.LBB47_3:                               ;   in Loop: Header=BB47_4 Depth=1
	v_lshl_add_u64 v[0:1], v[0:1], 0, s[4:5]
	v_cmp_le_i64_e32 vcc, s[6:7], v[0:1]
	flat_store_dwordx2 v[2:3], v[4:5]
	s_or_b64 s[12:13], vcc, s[12:13]
	v_lshl_add_u64 v[2:3], v[2:3], 0, s[8:9]
	s_andn2_b64 exec, exec, s[12:13]
	s_cbranch_execz .LBB47_6
.LBB47_4:                               ; =>This Inner Loop Header: Depth=1
	v_mov_b32_e32 v4, 0
	s_and_b64 vcc, exec, s[0:1]
	v_mov_b32_e32 v5, 0
	s_cbranch_vccnz .LBB47_3
; %bb.5:                                ;   in Loop: Header=BB47_4 Depth=1
	flat_load_dwordx2 v[6:7], v[2:3]
	s_waitcnt vmcnt(0) lgkmcnt(0)
	v_pk_mul_f32 v[8:9], v[6:7], s[10:11] op_sel:[1,0] op_sel_hi:[0,1]
	v_pk_fma_f32 v[4:5], v[6:7], s[2:3], v[8:9] neg_lo:[0,0,1] neg_hi:[0,0,1]
	v_pk_fma_f32 v[6:7], v[6:7], s[2:3], v[8:9]
	s_nop 0
	v_mov_b32_e32 v5, v7
	s_branch .LBB47_3
.LBB47_6:
	s_endpgm
	.section	.rodata,"a",@progbits
	.p2align	6, 0x0
	.amdhsa_kernel _ZL25rocblas_symm_scale_kernelILi128ELi8E19rocblas_complex_numIfEPKPS1_EviiT1_T2_llli
		.amdhsa_group_segment_fixed_size 0
		.amdhsa_private_segment_fixed_size 0
		.amdhsa_kernarg_size 312
		.amdhsa_user_sgpr_count 2
		.amdhsa_user_sgpr_dispatch_ptr 0
		.amdhsa_user_sgpr_queue_ptr 0
		.amdhsa_user_sgpr_kernarg_segment_ptr 1
		.amdhsa_user_sgpr_dispatch_id 0
		.amdhsa_user_sgpr_kernarg_preload_length 0
		.amdhsa_user_sgpr_kernarg_preload_offset 0
		.amdhsa_user_sgpr_private_segment_size 0
		.amdhsa_uses_dynamic_stack 0
		.amdhsa_enable_private_segment 0
		.amdhsa_system_sgpr_workgroup_id_x 1
		.amdhsa_system_sgpr_workgroup_id_y 1
		.amdhsa_system_sgpr_workgroup_id_z 1
		.amdhsa_system_sgpr_workgroup_info 0
		.amdhsa_system_vgpr_workitem_id 1
		.amdhsa_next_free_vgpr 10
		.amdhsa_next_free_sgpr 18
		.amdhsa_accum_offset 12
		.amdhsa_reserve_vcc 1
		.amdhsa_float_round_mode_32 0
		.amdhsa_float_round_mode_16_64 0
		.amdhsa_float_denorm_mode_32 3
		.amdhsa_float_denorm_mode_16_64 3
		.amdhsa_dx10_clamp 1
		.amdhsa_ieee_mode 1
		.amdhsa_fp16_overflow 0
		.amdhsa_tg_split 0
		.amdhsa_exception_fp_ieee_invalid_op 0
		.amdhsa_exception_fp_denorm_src 0
		.amdhsa_exception_fp_ieee_div_zero 0
		.amdhsa_exception_fp_ieee_overflow 0
		.amdhsa_exception_fp_ieee_underflow 0
		.amdhsa_exception_fp_ieee_inexact 0
		.amdhsa_exception_int_div_zero 0
	.end_amdhsa_kernel
	.section	.text._ZL25rocblas_symm_scale_kernelILi128ELi8E19rocblas_complex_numIfEPKPS1_EviiT1_T2_llli,"axG",@progbits,_ZL25rocblas_symm_scale_kernelILi128ELi8E19rocblas_complex_numIfEPKPS1_EviiT1_T2_llli,comdat
.Lfunc_end47:
	.size	_ZL25rocblas_symm_scale_kernelILi128ELi8E19rocblas_complex_numIfEPKPS1_EviiT1_T2_llli, .Lfunc_end47-_ZL25rocblas_symm_scale_kernelILi128ELi8E19rocblas_complex_numIfEPKPS1_EviiT1_T2_llli
                                        ; -- End function
	.set _ZL25rocblas_symm_scale_kernelILi128ELi8E19rocblas_complex_numIfEPKPS1_EviiT1_T2_llli.num_vgpr, 10
	.set _ZL25rocblas_symm_scale_kernelILi128ELi8E19rocblas_complex_numIfEPKPS1_EviiT1_T2_llli.num_agpr, 0
	.set _ZL25rocblas_symm_scale_kernelILi128ELi8E19rocblas_complex_numIfEPKPS1_EviiT1_T2_llli.numbered_sgpr, 18
	.set _ZL25rocblas_symm_scale_kernelILi128ELi8E19rocblas_complex_numIfEPKPS1_EviiT1_T2_llli.num_named_barrier, 0
	.set _ZL25rocblas_symm_scale_kernelILi128ELi8E19rocblas_complex_numIfEPKPS1_EviiT1_T2_llli.private_seg_size, 0
	.set _ZL25rocblas_symm_scale_kernelILi128ELi8E19rocblas_complex_numIfEPKPS1_EviiT1_T2_llli.uses_vcc, 1
	.set _ZL25rocblas_symm_scale_kernelILi128ELi8E19rocblas_complex_numIfEPKPS1_EviiT1_T2_llli.uses_flat_scratch, 0
	.set _ZL25rocblas_symm_scale_kernelILi128ELi8E19rocblas_complex_numIfEPKPS1_EviiT1_T2_llli.has_dyn_sized_stack, 0
	.set _ZL25rocblas_symm_scale_kernelILi128ELi8E19rocblas_complex_numIfEPKPS1_EviiT1_T2_llli.has_recursion, 0
	.set _ZL25rocblas_symm_scale_kernelILi128ELi8E19rocblas_complex_numIfEPKPS1_EviiT1_T2_llli.has_indirect_call, 0
	.section	.AMDGPU.csdata,"",@progbits
; Kernel info:
; codeLenInByte = 404
; TotalNumSgprs: 24
; NumVgprs: 10
; NumAgprs: 0
; TotalNumVgprs: 10
; ScratchSize: 0
; MemoryBound: 0
; FloatMode: 240
; IeeeMode: 1
; LDSByteSize: 0 bytes/workgroup (compile time only)
; SGPRBlocks: 2
; VGPRBlocks: 1
; NumSGPRsForWavesPerEU: 24
; NumVGPRsForWavesPerEU: 10
; AccumOffset: 12
; Occupancy: 8
; WaveLimiterHint : 0
; COMPUTE_PGM_RSRC2:SCRATCH_EN: 0
; COMPUTE_PGM_RSRC2:USER_SGPR: 2
; COMPUTE_PGM_RSRC2:TRAP_HANDLER: 0
; COMPUTE_PGM_RSRC2:TGID_X_EN: 1
; COMPUTE_PGM_RSRC2:TGID_Y_EN: 1
; COMPUTE_PGM_RSRC2:TGID_Z_EN: 1
; COMPUTE_PGM_RSRC2:TIDIG_COMP_CNT: 1
; COMPUTE_PGM_RSRC3_GFX90A:ACCUM_OFFSET: 2
; COMPUTE_PGM_RSRC3_GFX90A:TG_SPLIT: 0
	.section	.text._ZL24rocblas_symm_hemm_kernelILb0ELb0ELi32E19rocblas_complex_numIfEPKPKS1_PKPS1_EvbiiT2_T3_lllSA_lllT4_llli,"axG",@progbits,_ZL24rocblas_symm_hemm_kernelILb0ELb0ELi32E19rocblas_complex_numIfEPKPKS1_PKPS1_EvbiiT2_T3_lllSA_lllT4_llli,comdat
	.globl	_ZL24rocblas_symm_hemm_kernelILb0ELb0ELi32E19rocblas_complex_numIfEPKPKS1_PKPS1_EvbiiT2_T3_lllSA_lllT4_llli ; -- Begin function _ZL24rocblas_symm_hemm_kernelILb0ELb0ELi32E19rocblas_complex_numIfEPKPKS1_PKPS1_EvbiiT2_T3_lllSA_lllT4_llli
	.p2align	8
	.type	_ZL24rocblas_symm_hemm_kernelILb0ELb0ELi32E19rocblas_complex_numIfEPKPKS1_PKPS1_EvbiiT2_T3_lllSA_lllT4_llli,@function
_ZL24rocblas_symm_hemm_kernelILb0ELb0ELi32E19rocblas_complex_numIfEPKPKS1_PKPS1_EvbiiT2_T3_lllSA_lllT4_llli: ; @_ZL24rocblas_symm_hemm_kernelILb0ELb0ELi32E19rocblas_complex_numIfEPKPKS1_PKPS1_EvbiiT2_T3_lllSA_lllT4_llli
; %bb.0:
	s_load_dwordx4 s[12:15], s[0:1], 0x0
	s_load_dword s11, s[0:1], 0x10
	s_waitcnt lgkmcnt(0)
	v_cmp_eq_f32_e64 s[6:7], s15, 0
	v_cmp_eq_f32_e64 s[8:9], s11, 0
	s_and_b64 s[6:7], s[6:7], s[8:9]
	s_and_b64 vcc, exec, s[6:7]
	s_cbranch_vccnz .LBB48_13
; %bb.1:
	s_add_i32 s5, s14, -1
	s_ashr_i32 s6, s5, 31
	s_lshr_b32 s6, s6, 27
	s_add_i32 s5, s5, s6
	s_ashr_i32 s33, s5, 5
	s_cmp_gt_i32 s3, s33
	s_cbranch_scc1 .LBB48_13
; %bb.2:
	s_load_dwordx4 s[20:23], s[0:1], 0x18
	s_load_dwordx2 s[16:17], s[0:1], 0x28
	s_mov_b32 s5, 0
	s_lshl_b64 s[8:9], s[4:5], 3
	v_and_b32_e32 v16, 0x3ff, v0
	s_waitcnt lgkmcnt(0)
	s_add_u32 s4, s20, s8
	s_addc_u32 s5, s21, s9
	s_load_dwordx2 s[20:21], s[4:5], 0x0
	s_nop 0
	s_load_dwordx4 s[4:7], s[0:1], 0x38
	s_load_dwordx2 s[18:19], s[0:1], 0x48
	s_lshl_b64 s[22:23], s[22:23], 3
	v_lshl_add_u32 v8, s2, 5, v16
	v_bfe_u32 v17, v0, 10, 10
	s_waitcnt lgkmcnt(0)
	s_add_u32 s20, s20, s22
	s_addc_u32 s21, s21, s23
	s_add_u32 s4, s4, s8
	s_addc_u32 s5, s5, s9
	s_load_dwordx2 s[24:25], s[4:5], 0x0
	s_load_dwordx2 s[22:23], s[0:1], 0x68
	s_load_dwordx4 s[28:31], s[0:1], 0x58
	s_lshl_b64 s[4:5], s[6:7], 3
	s_load_dword s2, s[0:1], 0x84
	s_waitcnt lgkmcnt(0)
	s_add_u32 s24, s24, s4
	s_addc_u32 s25, s25, s5
	s_add_u32 s4, s28, s8
	s_addc_u32 s5, s29, s9
	s_load_dwordx2 s[4:5], s[4:5], 0x0
	s_bitcmp1_b32 s12, 0
	s_cselect_b64 s[6:7], -1, 0
	s_lshl_b64 s[8:9], s[30:31], 3
	v_lshlrev_b32_e32 v18, 8, v16
	s_waitcnt lgkmcnt(0)
	s_add_u32 s4, s4, s8
	s_addc_u32 s5, s5, s9
	s_cmp_gt_i32 s13, 0
	v_lshlrev_b32_e32 v0, 3, v17
	s_cselect_b64 s[0:1], -1, 0
	v_add_u32_e32 v19, v18, v0
	v_or_b32_e32 v20, 0x2000, v0
	v_ashrrev_i32_e32 v9, 31, v8
	v_cndmask_b32_e64 v0, 0, 1, s[0:1]
	s_mov_b32 s10, s15
	v_add_u32_e32 v21, v20, v18
	v_cmp_gt_i32_e64 s[8:9], s13, v8
	v_lshl_add_u64 v[10:11], v[8:9], 3, s[4:5]
	s_mov_b32 s26, s11
	s_mov_b32 s27, s15
	v_cmp_ne_u32_e64 s[4:5], 1, v0
	v_add_u32_e32 v9, 0x800, v20
	v_add_u32_e32 v22, 0x1000, v20
	;; [unrolled: 1-line block ×3, first 2 shown]
	s_branch .LBB48_4
.LBB48_3:                               ;   in Loop: Header=BB48_4 Depth=1
	s_add_i32 s3, s3, s2
	s_cmp_gt_i32 s3, s33
	s_cbranch_scc1 .LBB48_13
.LBB48_4:                               ; =>This Loop Header: Depth=1
                                        ;     Child Loop BB48_7 Depth 2
	s_and_b64 vcc, exec, s[4:5]
	s_cbranch_vccnz .LBB48_3
; %bb.5:                                ;   in Loop: Header=BB48_4 Depth=1
	v_lshl_add_u32 v2, s3, 5, v17
	v_ashrrev_i32_e32 v3, 31, v2
	v_mul_lo_u32 v4, s18, v3
	v_mul_lo_u32 v5, s19, v2
	v_mad_u64_u32 v[0:1], s[0:1], s18, v2, 0
	v_add3_u32 v1, v1, v4, v5
	v_lshl_add_u64 v[12:13], v[0:1], 3, s[24:25]
	v_mul_lo_u32 v3, s22, v3
	v_mul_lo_u32 v4, s23, v2
	v_mad_u64_u32 v[0:1], s[0:1], s22, v2, 0
	v_cmp_gt_i32_e32 vcc, s14, v2
	v_add3_u32 v1, v1, v3, v4
	s_and_b64 s[28:29], s[8:9], vcc
	v_lshl_add_u64 v[14:15], v[0:1], 3, v[10:11]
	s_mov_b32 s12, 0
	s_branch .LBB48_7
.LBB48_6:                               ;   in Loop: Header=BB48_7 Depth=2
	s_or_b64 exec, exec, s[0:1]
	s_add_i32 s12, s12, 32
	s_cmp_ge_i32 s12, s13
	s_waitcnt lgkmcnt(0)
	s_barrier
	s_cbranch_scc1 .LBB48_3
.LBB48_7:                               ;   Parent Loop BB48_4 Depth=1
                                        ; =>  This Inner Loop Header: Depth=2
	v_add_u32_e32 v0, s12, v17
	v_cndmask_b32_e64 v1, v0, v8, s[6:7]
	v_cndmask_b32_e64 v2, v8, v0, s[6:7]
	v_cmp_gt_i32_e64 s[0:1], v1, v2
	v_mov_b32_e32 v4, 0
	v_mov_b32_e32 v5, 0
	v_cndmask_b32_e64 v2, v8, v0, s[0:1]
	v_cndmask_b32_e64 v1, v0, v8, s[0:1]
	v_max_i32_e32 v0, v2, v1
	v_cmp_gt_i32_e64 s[0:1], s13, v0
	v_mov_b32_e32 v0, 0
	s_and_saveexec_b64 s[30:31], s[0:1]
	s_cbranch_execz .LBB48_9
; %bb.8:                                ;   in Loop: Header=BB48_7 Depth=2
	v_ashrrev_i32_e32 v3, 31, v1
	v_mul_lo_u32 v6, s17, v1
	v_mul_lo_u32 v3, s16, v3
	v_mad_u64_u32 v[4:5], s[0:1], s16, v1, 0
	v_add3_u32 v5, v5, v3, v6
	v_ashrrev_i32_e32 v3, 31, v2
	v_lshl_add_u64 v[4:5], v[4:5], 3, s[20:21]
	v_lshl_add_u64 v[2:3], v[2:3], 3, v[4:5]
	flat_load_dwordx2 v[4:5], v[2:3]
.LBB48_9:                               ;   in Loop: Header=BB48_7 Depth=2
	s_or_b64 exec, exec, s[30:31]
	v_add_u32_e32 v2, s12, v16
	v_cmp_gt_i32_e64 s[0:1], s13, v2
	s_and_b64 s[30:31], s[0:1], vcc
	v_mov_b32_e32 v1, 0
	s_waitcnt vmcnt(0) lgkmcnt(0)
	ds_write_b64 v19, v[4:5]
	s_and_saveexec_b64 s[0:1], s[30:31]
	s_cbranch_execz .LBB48_11
; %bb.10:                               ;   in Loop: Header=BB48_7 Depth=2
	v_ashrrev_i32_e32 v3, 31, v2
	v_lshl_add_u64 v[0:1], v[2:3], 3, v[12:13]
	flat_load_dwordx2 v[0:1], v[0:1]
.LBB48_11:                              ;   in Loop: Header=BB48_7 Depth=2
	s_or_b64 exec, exec, s[0:1]
	s_waitcnt vmcnt(0) lgkmcnt(0)
	ds_write_b64 v21, v[0:1]
	s_waitcnt lgkmcnt(0)
	s_barrier
	s_and_saveexec_b64 s[0:1], s[28:29]
	s_cbranch_execz .LBB48_6
; %bb.12:                               ;   in Loop: Header=BB48_7 Depth=2
	ds_read2_b64 v[0:3], v20 offset1:32
	ds_read_b128 v[4:7], v18
	ds_read_b128 v[24:27], v18 offset:16
	ds_read_b128 v[28:31], v18 offset:32
	;; [unrolled: 1-line block ×3, first 2 shown]
	s_waitcnt lgkmcnt(3)
	v_mul_f32_e32 v36, v1, v5
	v_fma_f32 v36, v0, v4, -v36
	v_mul_f32_e32 v0, v0, v5
	v_fmac_f32_e32 v0, v1, v4
	v_add_f32_e32 v1, 0, v36
	ds_read2_b64 v[36:39], v20 offset0:64 offset1:96
	v_mul_f32_e32 v4, v3, v7
	v_fma_f32 v4, v2, v6, -v4
	v_mul_f32_e32 v2, v2, v7
	v_add_f32_e32 v0, 0, v0
	v_fmac_f32_e32 v2, v3, v6
	s_waitcnt lgkmcnt(0)
	v_mul_f32_e32 v3, v36, v25
	v_add_f32_e32 v0, v0, v2
	v_mul_f32_e32 v2, v37, v25
	v_fmac_f32_e32 v3, v37, v24
	v_add_f32_e32 v1, v1, v4
	v_fma_f32 v2, v36, v24, -v2
	v_add_f32_e32 v5, v0, v3
	v_mul_f32_e32 v0, v39, v27
	v_add_f32_e32 v4, v1, v2
	v_fma_f32 v6, v38, v26, -v0
	ds_read2_b64 v[0:3], v20 offset0:128 offset1:160
	v_mul_f32_e32 v7, v38, v27
	v_add_f32_e32 v4, v4, v6
	v_fmac_f32_e32 v7, v39, v26
	v_add_f32_e32 v5, v5, v7
	s_waitcnt lgkmcnt(0)
	v_mul_f32_e32 v6, v1, v29
	v_fma_f32 v6, v0, v28, -v6
	v_mul_f32_e32 v0, v0, v29
	v_fmac_f32_e32 v0, v1, v28
	v_add_f32_e32 v1, v4, v6
	v_mul_f32_e32 v4, v3, v31
	v_add_f32_e32 v0, v5, v0
	v_fma_f32 v24, v2, v30, -v4
	ds_read2_b64 v[4:7], v20 offset0:192 offset1:224
	v_mul_f32_e32 v2, v2, v31
	v_fmac_f32_e32 v2, v3, v30
	v_add_f32_e32 v0, v0, v2
	v_add_f32_e32 v1, v1, v24
	s_waitcnt lgkmcnt(0)
	v_mul_f32_e32 v3, v4, v33
	v_mul_f32_e32 v2, v5, v33
	v_fmac_f32_e32 v3, v5, v32
	v_fma_f32 v2, v4, v32, -v2
	v_add_f32_e32 v5, v0, v3
	v_mul_f32_e32 v0, v7, v35
	v_add_f32_e32 v4, v1, v2
	v_fma_f32 v28, v6, v34, -v0
	ds_read_b128 v[0:3], v18 offset:64
	ds_read2_b64 v[24:27], v9 offset1:32
	v_mul_f32_e32 v6, v6, v35
	v_fmac_f32_e32 v6, v7, v34
	v_add_f32_e32 v28, v4, v28
	v_add_f32_e32 v29, v5, v6
	s_waitcnt lgkmcnt(0)
	v_mul_f32_e32 v30, v25, v1
	v_mul_f32_e32 v1, v24, v1
	v_fma_f32 v30, v24, v0, -v30
	v_fmac_f32_e32 v1, v25, v0
	ds_read_b128 v[4:7], v18 offset:80
	v_add_f32_e32 v0, v28, v30
	v_add_f32_e32 v1, v29, v1
	ds_read2_b64 v[28:31], v9 offset0:64 offset1:96
	v_mul_f32_e32 v24, v27, v3
	v_mul_f32_e32 v3, v26, v3
	v_fma_f32 v24, v26, v2, -v24
	v_fmac_f32_e32 v3, v27, v2
	s_waitcnt lgkmcnt(0)
	v_mul_f32_e32 v2, v29, v5
	v_add_f32_e32 v0, v0, v24
	v_add_f32_e32 v1, v1, v3
	v_fma_f32 v2, v28, v4, -v2
	v_mul_f32_e32 v3, v28, v5
	v_fmac_f32_e32 v3, v29, v4
	v_add_f32_e32 v4, v0, v2
	v_mul_f32_e32 v0, v31, v7
	v_add_f32_e32 v5, v1, v3
	v_fma_f32 v28, v30, v6, -v0
	ds_read_b128 v[0:3], v18 offset:96
	ds_read2_b64 v[24:27], v9 offset0:128 offset1:160
	v_mul_f32_e32 v7, v30, v7
	v_fmac_f32_e32 v7, v31, v6
	v_add_f32_e32 v28, v4, v28
	v_add_f32_e32 v29, v5, v7
	s_waitcnt lgkmcnt(0)
	v_mul_f32_e32 v30, v25, v1
	v_mul_f32_e32 v1, v24, v1
	v_fma_f32 v30, v24, v0, -v30
	v_fmac_f32_e32 v1, v25, v0
	ds_read_b128 v[4:7], v18 offset:112
	v_add_f32_e32 v0, v28, v30
	v_add_f32_e32 v1, v29, v1
	ds_read2_b64 v[28:31], v9 offset0:192 offset1:224
	v_mul_f32_e32 v24, v27, v3
	v_mul_f32_e32 v3, v26, v3
	v_fma_f32 v24, v26, v2, -v24
	v_fmac_f32_e32 v3, v27, v2
	s_waitcnt lgkmcnt(0)
	v_mul_f32_e32 v2, v29, v5
	v_add_f32_e32 v0, v0, v24
	v_add_f32_e32 v1, v1, v3
	v_fma_f32 v2, v28, v4, -v2
	v_mul_f32_e32 v3, v28, v5
	v_fmac_f32_e32 v3, v29, v4
	v_add_f32_e32 v4, v0, v2
	v_mul_f32_e32 v0, v31, v7
	v_add_f32_e32 v5, v1, v3
	v_fma_f32 v28, v30, v6, -v0
	ds_read_b128 v[0:3], v18 offset:128
	ds_read2_b64 v[24:27], v22 offset1:32
	v_mul_f32_e32 v7, v30, v7
	v_fmac_f32_e32 v7, v31, v6
	v_add_f32_e32 v4, v4, v28
	ds_read_b128 v[28:31], v18 offset:144
	ds_read2_b64 v[32:35], v22 offset0:64 offset1:96
	s_waitcnt lgkmcnt(2)
	v_mul_f32_e32 v6, v25, v1
	v_fma_f32 v6, v24, v0, -v6
	v_mul_f32_e32 v1, v24, v1
	v_add_f32_e32 v5, v5, v7
	v_fmac_f32_e32 v1, v25, v0
	v_add_f32_e32 v0, v4, v6
	v_mul_f32_e32 v4, v27, v3
	v_mul_f32_e32 v3, v26, v3
	v_add_f32_e32 v1, v5, v1
	v_fma_f32 v4, v26, v2, -v4
	v_fmac_f32_e32 v3, v27, v2
	s_waitcnt lgkmcnt(0)
	v_mul_f32_e32 v2, v33, v29
	v_add_f32_e32 v0, v0, v4
	v_add_f32_e32 v1, v1, v3
	v_fma_f32 v2, v32, v28, -v2
	v_mul_f32_e32 v3, v32, v29
	v_fmac_f32_e32 v3, v33, v28
	v_add_f32_e32 v24, v0, v2
	v_mul_f32_e32 v0, v35, v31
	v_add_f32_e32 v25, v1, v3
	v_fma_f32 v26, v34, v30, -v0
	ds_read_b128 v[0:3], v18 offset:160
	ds_read2_b64 v[4:7], v22 offset0:128 offset1:160
	flat_load_dwordx2 v[32:33], v[14:15]
	v_mul_f32_e32 v27, v34, v31
	v_fmac_f32_e32 v27, v35, v30
	v_add_f32_e32 v28, v24, v26
	s_waitcnt lgkmcnt(0)
	v_mul_f32_e32 v30, v5, v1
	v_mul_f32_e32 v1, v4, v1
	v_add_f32_e32 v29, v25, v27
	v_fma_f32 v30, v4, v0, -v30
	v_fmac_f32_e32 v1, v5, v0
	ds_read_b128 v[24:27], v18 offset:176
	v_add_f32_e32 v0, v28, v30
	v_add_f32_e32 v1, v29, v1
	ds_read2_b64 v[28:31], v22 offset0:192 offset1:224
	v_mul_f32_e32 v4, v7, v3
	v_mul_f32_e32 v3, v6, v3
	v_fma_f32 v4, v6, v2, -v4
	v_fmac_f32_e32 v3, v7, v2
	s_waitcnt lgkmcnt(0)
	v_mul_f32_e32 v2, v29, v25
	v_add_f32_e32 v0, v0, v4
	v_add_f32_e32 v1, v1, v3
	v_fma_f32 v2, v28, v24, -v2
	v_mul_f32_e32 v3, v28, v25
	v_fmac_f32_e32 v3, v29, v24
	v_add_f32_e32 v24, v0, v2
	v_mul_f32_e32 v0, v31, v27
	v_add_f32_e32 v25, v1, v3
	v_fma_f32 v28, v30, v26, -v0
	ds_read_b128 v[0:3], v18 offset:192
	ds_read2_b64 v[4:7], v23 offset1:32
	v_mul_f32_e32 v27, v30, v27
	v_fmac_f32_e32 v27, v31, v26
	v_add_f32_e32 v28, v24, v28
	v_add_f32_e32 v29, v25, v27
	s_waitcnt lgkmcnt(0)
	v_mul_f32_e32 v30, v5, v1
	v_mul_f32_e32 v1, v4, v1
	v_fma_f32 v30, v4, v0, -v30
	v_fmac_f32_e32 v1, v5, v0
	ds_read_b128 v[24:27], v18 offset:208
	v_add_f32_e32 v0, v28, v30
	v_add_f32_e32 v1, v29, v1
	ds_read2_b64 v[28:31], v23 offset0:64 offset1:96
	v_mul_f32_e32 v4, v7, v3
	v_mul_f32_e32 v3, v6, v3
	v_fma_f32 v4, v6, v2, -v4
	v_fmac_f32_e32 v3, v7, v2
	s_waitcnt lgkmcnt(0)
	v_mul_f32_e32 v2, v29, v25
	v_add_f32_e32 v0, v0, v4
	v_add_f32_e32 v1, v1, v3
	v_fma_f32 v2, v28, v24, -v2
	v_mul_f32_e32 v3, v28, v25
	v_fmac_f32_e32 v3, v29, v24
	v_add_f32_e32 v24, v0, v2
	v_mul_f32_e32 v0, v31, v27
	v_add_f32_e32 v25, v1, v3
	v_fma_f32 v28, v30, v26, -v0
	ds_read_b128 v[0:3], v18 offset:224
	ds_read2_b64 v[4:7], v23 offset0:128 offset1:160
	v_mul_f32_e32 v27, v30, v27
	v_fmac_f32_e32 v27, v31, v26
	v_add_f32_e32 v28, v24, v28
	v_add_f32_e32 v29, v25, v27
	s_waitcnt lgkmcnt(0)
	v_mul_f32_e32 v30, v5, v1
	v_mul_f32_e32 v1, v4, v1
	v_fma_f32 v30, v4, v0, -v30
	v_fmac_f32_e32 v1, v5, v0
	ds_read_b128 v[24:27], v18 offset:240
	v_add_f32_e32 v0, v28, v30
	v_add_f32_e32 v1, v29, v1
	ds_read2_b64 v[28:31], v23 offset0:192 offset1:224
	v_mul_f32_e32 v4, v7, v3
	v_mul_f32_e32 v3, v6, v3
	v_fmac_f32_e32 v3, v7, v2
	v_fma_f32 v4, v6, v2, -v4
	v_add_f32_e32 v1, v1, v3
	s_waitcnt lgkmcnt(0)
	v_mul_f32_e32 v2, v29, v25
	v_mul_f32_e32 v3, v28, v25
	v_add_f32_e32 v0, v0, v4
	v_fma_f32 v2, v28, v24, -v2
	v_fmac_f32_e32 v3, v29, v24
	v_add_f32_e32 v0, v0, v2
	v_add_f32_e32 v1, v1, v3
	v_mul_f32_e32 v2, v31, v27
	v_mul_f32_e32 v3, v30, v27
	v_fma_f32 v2, v30, v26, -v2
	v_fmac_f32_e32 v3, v31, v26
	v_add_f32_e32 v0, v0, v2
	v_add_f32_e32 v2, v1, v3
	v_pk_mul_f32 v[2:3], s[26:27], v[2:3] op_sel_hi:[1,0]
	s_nop 0
	v_pk_fma_f32 v[4:5], s[10:11], v[0:1], v[2:3] neg_lo:[0,0,1] neg_hi:[0,0,1]
	v_pk_fma_f32 v[0:1], s[10:11], v[0:1], v[2:3] op_sel_hi:[1,0,1]
	s_nop 0
	v_mov_b32_e32 v5, v1
	s_waitcnt vmcnt(0)
	v_pk_add_f32 v[0:1], v[32:33], v[4:5]
	flat_store_dwordx2 v[14:15], v[0:1]
	s_branch .LBB48_6
.LBB48_13:
	s_endpgm
	.section	.rodata,"a",@progbits
	.p2align	6, 0x0
	.amdhsa_kernel _ZL24rocblas_symm_hemm_kernelILb0ELb0ELi32E19rocblas_complex_numIfEPKPKS1_PKPS1_EvbiiT2_T3_lllSA_lllT4_llli
		.amdhsa_group_segment_fixed_size 16384
		.amdhsa_private_segment_fixed_size 0
		.amdhsa_kernarg_size 384
		.amdhsa_user_sgpr_count 2
		.amdhsa_user_sgpr_dispatch_ptr 0
		.amdhsa_user_sgpr_queue_ptr 0
		.amdhsa_user_sgpr_kernarg_segment_ptr 1
		.amdhsa_user_sgpr_dispatch_id 0
		.amdhsa_user_sgpr_kernarg_preload_length 0
		.amdhsa_user_sgpr_kernarg_preload_offset 0
		.amdhsa_user_sgpr_private_segment_size 0
		.amdhsa_uses_dynamic_stack 0
		.amdhsa_enable_private_segment 0
		.amdhsa_system_sgpr_workgroup_id_x 1
		.amdhsa_system_sgpr_workgroup_id_y 1
		.amdhsa_system_sgpr_workgroup_id_z 1
		.amdhsa_system_sgpr_workgroup_info 0
		.amdhsa_system_vgpr_workitem_id 1
		.amdhsa_next_free_vgpr 40
		.amdhsa_next_free_sgpr 34
		.amdhsa_accum_offset 40
		.amdhsa_reserve_vcc 1
		.amdhsa_float_round_mode_32 0
		.amdhsa_float_round_mode_16_64 0
		.amdhsa_float_denorm_mode_32 3
		.amdhsa_float_denorm_mode_16_64 3
		.amdhsa_dx10_clamp 1
		.amdhsa_ieee_mode 1
		.amdhsa_fp16_overflow 0
		.amdhsa_tg_split 0
		.amdhsa_exception_fp_ieee_invalid_op 0
		.amdhsa_exception_fp_denorm_src 0
		.amdhsa_exception_fp_ieee_div_zero 0
		.amdhsa_exception_fp_ieee_overflow 0
		.amdhsa_exception_fp_ieee_underflow 0
		.amdhsa_exception_fp_ieee_inexact 0
		.amdhsa_exception_int_div_zero 0
	.end_amdhsa_kernel
	.section	.text._ZL24rocblas_symm_hemm_kernelILb0ELb0ELi32E19rocblas_complex_numIfEPKPKS1_PKPS1_EvbiiT2_T3_lllSA_lllT4_llli,"axG",@progbits,_ZL24rocblas_symm_hemm_kernelILb0ELb0ELi32E19rocblas_complex_numIfEPKPKS1_PKPS1_EvbiiT2_T3_lllSA_lllT4_llli,comdat
.Lfunc_end48:
	.size	_ZL24rocblas_symm_hemm_kernelILb0ELb0ELi32E19rocblas_complex_numIfEPKPKS1_PKPS1_EvbiiT2_T3_lllSA_lllT4_llli, .Lfunc_end48-_ZL24rocblas_symm_hemm_kernelILb0ELb0ELi32E19rocblas_complex_numIfEPKPKS1_PKPS1_EvbiiT2_T3_lllSA_lllT4_llli
                                        ; -- End function
	.set _ZL24rocblas_symm_hemm_kernelILb0ELb0ELi32E19rocblas_complex_numIfEPKPKS1_PKPS1_EvbiiT2_T3_lllSA_lllT4_llli.num_vgpr, 40
	.set _ZL24rocblas_symm_hemm_kernelILb0ELb0ELi32E19rocblas_complex_numIfEPKPKS1_PKPS1_EvbiiT2_T3_lllSA_lllT4_llli.num_agpr, 0
	.set _ZL24rocblas_symm_hemm_kernelILb0ELb0ELi32E19rocblas_complex_numIfEPKPKS1_PKPS1_EvbiiT2_T3_lllSA_lllT4_llli.numbered_sgpr, 34
	.set _ZL24rocblas_symm_hemm_kernelILb0ELb0ELi32E19rocblas_complex_numIfEPKPKS1_PKPS1_EvbiiT2_T3_lllSA_lllT4_llli.num_named_barrier, 0
	.set _ZL24rocblas_symm_hemm_kernelILb0ELb0ELi32E19rocblas_complex_numIfEPKPKS1_PKPS1_EvbiiT2_T3_lllSA_lllT4_llli.private_seg_size, 0
	.set _ZL24rocblas_symm_hemm_kernelILb0ELb0ELi32E19rocblas_complex_numIfEPKPKS1_PKPS1_EvbiiT2_T3_lllSA_lllT4_llli.uses_vcc, 1
	.set _ZL24rocblas_symm_hemm_kernelILb0ELb0ELi32E19rocblas_complex_numIfEPKPKS1_PKPS1_EvbiiT2_T3_lllSA_lllT4_llli.uses_flat_scratch, 0
	.set _ZL24rocblas_symm_hemm_kernelILb0ELb0ELi32E19rocblas_complex_numIfEPKPKS1_PKPS1_EvbiiT2_T3_lllSA_lllT4_llli.has_dyn_sized_stack, 0
	.set _ZL24rocblas_symm_hemm_kernelILb0ELb0ELi32E19rocblas_complex_numIfEPKPKS1_PKPS1_EvbiiT2_T3_lllSA_lllT4_llli.has_recursion, 0
	.set _ZL24rocblas_symm_hemm_kernelILb0ELb0ELi32E19rocblas_complex_numIfEPKPKS1_PKPS1_EvbiiT2_T3_lllSA_lllT4_llli.has_indirect_call, 0
	.section	.AMDGPU.csdata,"",@progbits
; Kernel info:
; codeLenInByte = 2060
; TotalNumSgprs: 40
; NumVgprs: 40
; NumAgprs: 0
; TotalNumVgprs: 40
; ScratchSize: 0
; MemoryBound: 0
; FloatMode: 240
; IeeeMode: 1
; LDSByteSize: 16384 bytes/workgroup (compile time only)
; SGPRBlocks: 4
; VGPRBlocks: 4
; NumSGPRsForWavesPerEU: 40
; NumVGPRsForWavesPerEU: 40
; AccumOffset: 40
; Occupancy: 8
; WaveLimiterHint : 1
; COMPUTE_PGM_RSRC2:SCRATCH_EN: 0
; COMPUTE_PGM_RSRC2:USER_SGPR: 2
; COMPUTE_PGM_RSRC2:TRAP_HANDLER: 0
; COMPUTE_PGM_RSRC2:TGID_X_EN: 1
; COMPUTE_PGM_RSRC2:TGID_Y_EN: 1
; COMPUTE_PGM_RSRC2:TGID_Z_EN: 1
; COMPUTE_PGM_RSRC2:TIDIG_COMP_CNT: 1
; COMPUTE_PGM_RSRC3_GFX90A:ACCUM_OFFSET: 9
; COMPUTE_PGM_RSRC3_GFX90A:TG_SPLIT: 0
	.section	.text._ZL24rocblas_symm_hemm_kernelILb0ELb1ELi32E19rocblas_complex_numIfEPKPKS1_PKPS1_EvbiiT2_T3_lllSA_lllT4_llli,"axG",@progbits,_ZL24rocblas_symm_hemm_kernelILb0ELb1ELi32E19rocblas_complex_numIfEPKPKS1_PKPS1_EvbiiT2_T3_lllSA_lllT4_llli,comdat
	.globl	_ZL24rocblas_symm_hemm_kernelILb0ELb1ELi32E19rocblas_complex_numIfEPKPKS1_PKPS1_EvbiiT2_T3_lllSA_lllT4_llli ; -- Begin function _ZL24rocblas_symm_hemm_kernelILb0ELb1ELi32E19rocblas_complex_numIfEPKPKS1_PKPS1_EvbiiT2_T3_lllSA_lllT4_llli
	.p2align	8
	.type	_ZL24rocblas_symm_hemm_kernelILb0ELb1ELi32E19rocblas_complex_numIfEPKPKS1_PKPS1_EvbiiT2_T3_lllSA_lllT4_llli,@function
_ZL24rocblas_symm_hemm_kernelILb0ELb1ELi32E19rocblas_complex_numIfEPKPKS1_PKPS1_EvbiiT2_T3_lllSA_lllT4_llli: ; @_ZL24rocblas_symm_hemm_kernelILb0ELb1ELi32E19rocblas_complex_numIfEPKPKS1_PKPS1_EvbiiT2_T3_lllSA_lllT4_llli
; %bb.0:
	s_load_dwordx4 s[8:11], s[0:1], 0x0
	s_load_dword s13, s[0:1], 0x10
	s_waitcnt lgkmcnt(0)
	v_cmp_eq_f32_e64 s[6:7], s11, 0
	v_cmp_eq_f32_e64 s[14:15], s13, 0
	s_and_b64 s[6:7], s[6:7], s[14:15]
	s_and_b64 vcc, exec, s[6:7]
	s_cbranch_vccnz .LBB49_13
; %bb.1:
	s_add_i32 s5, s10, -1
	s_ashr_i32 s6, s5, 31
	s_lshr_b32 s6, s6, 27
	s_add_i32 s5, s5, s6
	s_ashr_i32 s26, s5, 5
	s_cmp_gt_i32 s3, s26
	s_cbranch_scc1 .LBB49_13
; %bb.2:
	s_load_dwordx4 s[20:23], s[0:1], 0x18
	s_load_dwordx2 s[14:15], s[0:1], 0x28
	s_mov_b32 s5, 0
	s_lshl_b64 s[4:5], s[4:5], 3
	v_and_b32_e32 v14, 0x3ff, v0
	s_waitcnt lgkmcnt(0)
	s_add_u32 s6, s20, s4
	s_addc_u32 s7, s21, s5
	s_load_dwordx2 s[20:21], s[6:7], 0x0
	s_load_dwordx4 s[28:31], s[0:1], 0x38
	s_load_dwordx2 s[16:17], s[0:1], 0x48
	s_load_dwordx2 s[18:19], s[0:1], 0x68
	s_load_dwordx4 s[36:39], s[0:1], 0x58
	s_lshl_b64 s[6:7], s[22:23], 3
	s_waitcnt lgkmcnt(0)
	s_add_u32 s20, s20, s6
	s_addc_u32 s21, s21, s7
	s_add_u32 s6, s28, s4
	s_addc_u32 s7, s29, s5
	;; [unrolled: 2-line block ×3, first 2 shown]
	s_load_dwordx2 s[22:23], s[4:5], 0x0
	s_load_dwordx2 s[24:25], s[6:7], 0x0
	s_bitcmp1_b32 s8, 0
	s_cselect_b64 s[6:7], -1, 0
	s_lshl_b64 s[4:5], s[38:39], 3
	s_waitcnt lgkmcnt(0)
	s_add_u32 s4, s22, s4
	s_addc_u32 s5, s23, s5
	s_lshl_b64 s[22:23], s[30:31], 3
	s_add_u32 s22, s24, s22
	v_lshl_add_u32 v2, s2, 5, v14
	s_addc_u32 s23, s25, s23
	v_ashrrev_i32_e32 v3, 31, v2
	s_load_dword s2, s[0:1], 0x84
	v_bfe_u32 v15, v0, 10, 10
	s_cmp_gt_i32 s10, 0
	v_lshlrev_b64 v[0:1], 3, v[2:3]
	v_cmp_gt_i32_e64 s[8:9], s9, v2
	v_lshlrev_b32_e32 v2, 3, v15
	v_lshl_add_u64 v[10:11], s[4:5], 0, v[0:1]
	s_cselect_b64 s[4:5], -1, 0
	v_lshl_add_u64 v[8:9], s[22:23], 0, v[0:1]
	v_lshlrev_b32_e32 v16, 8, v14
	v_or_b32_e32 v18, 0x2000, v2
	v_cndmask_b32_e64 v0, 0, 1, s[4:5]
	s_mov_b32 s12, s11
	v_add_u32_e32 v17, v16, v2
	v_add_u32_e32 v19, v18, v16
	s_mov_b32 s0, s13
	s_mov_b32 s1, s11
	v_cmp_ne_u32_e64 s[4:5], 1, v0
	v_add_u32_e32 v20, 0x800, v18
	v_add_u32_e32 v21, 0x1000, v18
	;; [unrolled: 1-line block ×3, first 2 shown]
	s_branch .LBB49_4
.LBB49_3:                               ;   in Loop: Header=BB49_4 Depth=1
	s_waitcnt lgkmcnt(0)
	s_add_i32 s3, s3, s2
	s_cmp_gt_i32 s3, s26
	s_cbranch_scc1 .LBB49_13
.LBB49_4:                               ; =>This Loop Header: Depth=1
                                        ;     Child Loop BB49_7 Depth 2
	s_and_b64 vcc, exec, s[4:5]
	s_cbranch_vccnz .LBB49_3
; %bb.5:                                ;   in Loop: Header=BB49_4 Depth=1
	v_lshl_add_u32 v23, s3, 5, v15
	v_ashrrev_i32_e32 v0, 31, v23
	v_mul_lo_u32 v2, s18, v0
	v_mul_lo_u32 v3, s19, v23
	v_mad_u64_u32 v[0:1], s[24:25], s18, v23, 0
	v_cmp_gt_i32_e32 vcc, s10, v23
	v_add3_u32 v1, v1, v2, v3
	s_and_b64 s[22:23], s[8:9], vcc
	v_lshl_add_u64 v[12:13], v[0:1], 3, v[10:11]
	s_mov_b32 s11, 0
	s_branch .LBB49_7
.LBB49_6:                               ;   in Loop: Header=BB49_7 Depth=2
	s_or_b64 exec, exec, s[24:25]
	s_add_i32 s11, s11, 32
	s_cmp_ge_i32 s11, s10
	s_waitcnt lgkmcnt(0)
	s_barrier
	s_cbranch_scc1 .LBB49_3
.LBB49_7:                               ;   Parent Loop BB49_4 Depth=1
                                        ; =>  This Inner Loop Header: Depth=2
	v_add_u32_e32 v1, s11, v15
	v_cmp_gt_i32_e32 vcc, s10, v1
	s_and_b64 s[28:29], s[8:9], vcc
	v_mov_b32_e32 v0, 0
	v_mov_b32_e32 v2, 0
	;; [unrolled: 1-line block ×3, first 2 shown]
	s_and_saveexec_b64 s[24:25], s[28:29]
	s_cbranch_execz .LBB49_9
; %bb.8:                                ;   in Loop: Header=BB49_7 Depth=2
	v_ashrrev_i32_e32 v2, 31, v1
	v_mul_lo_u32 v4, s17, v1
	v_mul_lo_u32 v5, s16, v2
	v_mad_u64_u32 v[2:3], s[28:29], s16, v1, 0
	v_add3_u32 v3, v3, v5, v4
	v_lshl_add_u64 v[2:3], v[2:3], 3, v[8:9]
	flat_load_dwordx2 v[2:3], v[2:3]
.LBB49_9:                               ;   in Loop: Header=BB49_7 Depth=2
	s_or_b64 exec, exec, s[24:25]
	v_add_u32_e32 v1, s11, v14
	s_waitcnt vmcnt(0) lgkmcnt(0)
	ds_write_b64 v17, v[2:3]
	v_cndmask_b32_e64 v2, v23, v1, s[6:7]
	v_cndmask_b32_e64 v3, v1, v23, s[6:7]
	v_cmp_gt_i32_e32 vcc, v2, v3
	s_nop 1
	v_cndmask_b32_e32 v2, v1, v23, vcc
	v_cndmask_b32_e32 v3, v23, v1, vcc
	v_max_i32_e32 v1, v2, v3
	v_cmp_gt_i32_e32 vcc, s10, v1
	v_mov_b32_e32 v1, 0
	s_and_saveexec_b64 s[24:25], vcc
	s_cbranch_execz .LBB49_11
; %bb.10:                               ;   in Loop: Header=BB49_7 Depth=2
	v_ashrrev_i32_e32 v0, 31, v3
	v_mul_lo_u32 v4, s15, v3
	v_mul_lo_u32 v5, s14, v0
	v_mad_u64_u32 v[0:1], s[28:29], s14, v3, 0
	v_add3_u32 v1, v1, v5, v4
	v_ashrrev_i32_e32 v3, 31, v2
	v_lshl_add_u64 v[0:1], v[0:1], 3, s[20:21]
	v_lshl_add_u64 v[0:1], v[2:3], 3, v[0:1]
	flat_load_dwordx2 v[0:1], v[0:1]
.LBB49_11:                              ;   in Loop: Header=BB49_7 Depth=2
	s_or_b64 exec, exec, s[24:25]
	s_waitcnt vmcnt(0) lgkmcnt(0)
	ds_write_b64 v19, v[0:1]
	s_waitcnt lgkmcnt(0)
	s_barrier
	s_and_saveexec_b64 s[24:25], s[22:23]
	s_cbranch_execz .LBB49_6
; %bb.12:                               ;   in Loop: Header=BB49_7 Depth=2
	ds_read2_b64 v[0:3], v18 offset1:32
	ds_read_b128 v[4:7], v16
	ds_read_b128 v[24:27], v16 offset:16
	ds_read_b128 v[28:31], v16 offset:32
	;; [unrolled: 1-line block ×3, first 2 shown]
	s_waitcnt lgkmcnt(3)
	v_mul_f32_e32 v36, v1, v5
	v_fma_f32 v36, v0, v4, -v36
	v_mul_f32_e32 v0, v0, v5
	v_fmac_f32_e32 v0, v1, v4
	v_add_f32_e32 v1, 0, v36
	ds_read2_b64 v[36:39], v18 offset0:64 offset1:96
	v_mul_f32_e32 v4, v3, v7
	v_fma_f32 v4, v2, v6, -v4
	v_mul_f32_e32 v2, v2, v7
	v_add_f32_e32 v0, 0, v0
	v_fmac_f32_e32 v2, v3, v6
	s_waitcnt lgkmcnt(0)
	v_mul_f32_e32 v3, v36, v25
	v_add_f32_e32 v0, v0, v2
	v_mul_f32_e32 v2, v37, v25
	v_fmac_f32_e32 v3, v37, v24
	v_add_f32_e32 v1, v1, v4
	v_fma_f32 v2, v36, v24, -v2
	v_add_f32_e32 v5, v0, v3
	v_mul_f32_e32 v0, v39, v27
	v_add_f32_e32 v4, v1, v2
	v_fma_f32 v6, v38, v26, -v0
	ds_read2_b64 v[0:3], v18 offset0:128 offset1:160
	v_mul_f32_e32 v7, v38, v27
	v_add_f32_e32 v4, v4, v6
	v_fmac_f32_e32 v7, v39, v26
	v_add_f32_e32 v5, v5, v7
	s_waitcnt lgkmcnt(0)
	v_mul_f32_e32 v6, v1, v29
	v_fma_f32 v6, v0, v28, -v6
	v_mul_f32_e32 v0, v0, v29
	v_fmac_f32_e32 v0, v1, v28
	v_add_f32_e32 v1, v4, v6
	v_mul_f32_e32 v4, v3, v31
	v_add_f32_e32 v0, v5, v0
	v_fma_f32 v24, v2, v30, -v4
	ds_read2_b64 v[4:7], v18 offset0:192 offset1:224
	v_mul_f32_e32 v2, v2, v31
	v_fmac_f32_e32 v2, v3, v30
	v_add_f32_e32 v0, v0, v2
	v_add_f32_e32 v1, v1, v24
	s_waitcnt lgkmcnt(0)
	v_mul_f32_e32 v3, v4, v33
	v_mul_f32_e32 v2, v5, v33
	v_fmac_f32_e32 v3, v5, v32
	v_fma_f32 v2, v4, v32, -v2
	v_add_f32_e32 v5, v0, v3
	v_mul_f32_e32 v0, v7, v35
	v_add_f32_e32 v4, v1, v2
	v_fma_f32 v28, v6, v34, -v0
	ds_read_b128 v[0:3], v16 offset:64
	ds_read2_b64 v[24:27], v20 offset1:32
	v_mul_f32_e32 v6, v6, v35
	v_fmac_f32_e32 v6, v7, v34
	v_add_f32_e32 v28, v4, v28
	v_add_f32_e32 v29, v5, v6
	s_waitcnt lgkmcnt(0)
	v_mul_f32_e32 v30, v25, v1
	v_mul_f32_e32 v1, v24, v1
	v_fma_f32 v30, v24, v0, -v30
	v_fmac_f32_e32 v1, v25, v0
	ds_read_b128 v[4:7], v16 offset:80
	v_add_f32_e32 v0, v28, v30
	v_add_f32_e32 v1, v29, v1
	ds_read2_b64 v[28:31], v20 offset0:64 offset1:96
	v_mul_f32_e32 v24, v27, v3
	v_mul_f32_e32 v3, v26, v3
	v_fma_f32 v24, v26, v2, -v24
	v_fmac_f32_e32 v3, v27, v2
	s_waitcnt lgkmcnt(0)
	v_mul_f32_e32 v2, v29, v5
	v_add_f32_e32 v0, v0, v24
	v_add_f32_e32 v1, v1, v3
	v_fma_f32 v2, v28, v4, -v2
	v_mul_f32_e32 v3, v28, v5
	v_fmac_f32_e32 v3, v29, v4
	v_add_f32_e32 v4, v0, v2
	v_mul_f32_e32 v0, v31, v7
	v_add_f32_e32 v5, v1, v3
	v_fma_f32 v28, v30, v6, -v0
	ds_read_b128 v[0:3], v16 offset:96
	ds_read2_b64 v[24:27], v20 offset0:128 offset1:160
	v_mul_f32_e32 v7, v30, v7
	v_fmac_f32_e32 v7, v31, v6
	v_add_f32_e32 v28, v4, v28
	v_add_f32_e32 v29, v5, v7
	s_waitcnt lgkmcnt(0)
	v_mul_f32_e32 v30, v25, v1
	v_mul_f32_e32 v1, v24, v1
	v_fma_f32 v30, v24, v0, -v30
	v_fmac_f32_e32 v1, v25, v0
	ds_read_b128 v[4:7], v16 offset:112
	v_add_f32_e32 v0, v28, v30
	v_add_f32_e32 v1, v29, v1
	ds_read2_b64 v[28:31], v20 offset0:192 offset1:224
	v_mul_f32_e32 v24, v27, v3
	v_mul_f32_e32 v3, v26, v3
	v_fma_f32 v24, v26, v2, -v24
	v_fmac_f32_e32 v3, v27, v2
	s_waitcnt lgkmcnt(0)
	v_mul_f32_e32 v2, v29, v5
	v_add_f32_e32 v0, v0, v24
	v_add_f32_e32 v1, v1, v3
	v_fma_f32 v2, v28, v4, -v2
	v_mul_f32_e32 v3, v28, v5
	v_fmac_f32_e32 v3, v29, v4
	v_add_f32_e32 v4, v0, v2
	v_mul_f32_e32 v0, v31, v7
	v_add_f32_e32 v5, v1, v3
	v_fma_f32 v28, v30, v6, -v0
	ds_read_b128 v[0:3], v16 offset:128
	ds_read2_b64 v[24:27], v21 offset1:32
	v_mul_f32_e32 v7, v30, v7
	v_fmac_f32_e32 v7, v31, v6
	v_add_f32_e32 v4, v4, v28
	ds_read_b128 v[28:31], v16 offset:144
	ds_read2_b64 v[32:35], v21 offset0:64 offset1:96
	s_waitcnt lgkmcnt(2)
	v_mul_f32_e32 v6, v25, v1
	v_fma_f32 v6, v24, v0, -v6
	v_mul_f32_e32 v1, v24, v1
	v_add_f32_e32 v5, v5, v7
	v_fmac_f32_e32 v1, v25, v0
	v_add_f32_e32 v0, v4, v6
	v_mul_f32_e32 v4, v27, v3
	v_mul_f32_e32 v3, v26, v3
	v_add_f32_e32 v1, v5, v1
	v_fma_f32 v4, v26, v2, -v4
	v_fmac_f32_e32 v3, v27, v2
	s_waitcnt lgkmcnt(0)
	v_mul_f32_e32 v2, v33, v29
	v_add_f32_e32 v0, v0, v4
	v_add_f32_e32 v1, v1, v3
	v_fma_f32 v2, v32, v28, -v2
	v_mul_f32_e32 v3, v32, v29
	v_fmac_f32_e32 v3, v33, v28
	v_add_f32_e32 v24, v0, v2
	v_mul_f32_e32 v0, v35, v31
	v_add_f32_e32 v25, v1, v3
	v_fma_f32 v26, v34, v30, -v0
	ds_read_b128 v[0:3], v16 offset:160
	ds_read2_b64 v[4:7], v21 offset0:128 offset1:160
	flat_load_dwordx2 v[32:33], v[12:13]
	v_mul_f32_e32 v27, v34, v31
	v_fmac_f32_e32 v27, v35, v30
	v_add_f32_e32 v28, v24, v26
	s_waitcnt lgkmcnt(0)
	v_mul_f32_e32 v30, v5, v1
	v_mul_f32_e32 v1, v4, v1
	v_add_f32_e32 v29, v25, v27
	v_fma_f32 v30, v4, v0, -v30
	v_fmac_f32_e32 v1, v5, v0
	ds_read_b128 v[24:27], v16 offset:176
	v_add_f32_e32 v0, v28, v30
	v_add_f32_e32 v1, v29, v1
	ds_read2_b64 v[28:31], v21 offset0:192 offset1:224
	v_mul_f32_e32 v4, v7, v3
	v_mul_f32_e32 v3, v6, v3
	v_fma_f32 v4, v6, v2, -v4
	v_fmac_f32_e32 v3, v7, v2
	s_waitcnt lgkmcnt(0)
	v_mul_f32_e32 v2, v29, v25
	v_add_f32_e32 v0, v0, v4
	v_add_f32_e32 v1, v1, v3
	v_fma_f32 v2, v28, v24, -v2
	v_mul_f32_e32 v3, v28, v25
	v_fmac_f32_e32 v3, v29, v24
	v_add_f32_e32 v24, v0, v2
	v_mul_f32_e32 v0, v31, v27
	v_add_f32_e32 v25, v1, v3
	v_fma_f32 v28, v30, v26, -v0
	ds_read_b128 v[0:3], v16 offset:192
	ds_read2_b64 v[4:7], v22 offset1:32
	v_mul_f32_e32 v27, v30, v27
	v_fmac_f32_e32 v27, v31, v26
	v_add_f32_e32 v28, v24, v28
	v_add_f32_e32 v29, v25, v27
	s_waitcnt lgkmcnt(0)
	v_mul_f32_e32 v30, v5, v1
	v_mul_f32_e32 v1, v4, v1
	v_fma_f32 v30, v4, v0, -v30
	v_fmac_f32_e32 v1, v5, v0
	ds_read_b128 v[24:27], v16 offset:208
	v_add_f32_e32 v0, v28, v30
	v_add_f32_e32 v1, v29, v1
	ds_read2_b64 v[28:31], v22 offset0:64 offset1:96
	v_mul_f32_e32 v4, v7, v3
	v_mul_f32_e32 v3, v6, v3
	v_fma_f32 v4, v6, v2, -v4
	v_fmac_f32_e32 v3, v7, v2
	s_waitcnt lgkmcnt(0)
	v_mul_f32_e32 v2, v29, v25
	v_add_f32_e32 v0, v0, v4
	v_add_f32_e32 v1, v1, v3
	v_fma_f32 v2, v28, v24, -v2
	v_mul_f32_e32 v3, v28, v25
	v_fmac_f32_e32 v3, v29, v24
	v_add_f32_e32 v24, v0, v2
	v_mul_f32_e32 v0, v31, v27
	v_add_f32_e32 v25, v1, v3
	v_fma_f32 v28, v30, v26, -v0
	ds_read_b128 v[0:3], v16 offset:224
	ds_read2_b64 v[4:7], v22 offset0:128 offset1:160
	v_mul_f32_e32 v27, v30, v27
	v_fmac_f32_e32 v27, v31, v26
	v_add_f32_e32 v28, v24, v28
	v_add_f32_e32 v29, v25, v27
	s_waitcnt lgkmcnt(0)
	v_mul_f32_e32 v30, v5, v1
	v_mul_f32_e32 v1, v4, v1
	v_fma_f32 v30, v4, v0, -v30
	v_fmac_f32_e32 v1, v5, v0
	ds_read_b128 v[24:27], v16 offset:240
	v_add_f32_e32 v0, v28, v30
	v_add_f32_e32 v1, v29, v1
	ds_read2_b64 v[28:31], v22 offset0:192 offset1:224
	v_mul_f32_e32 v4, v7, v3
	v_mul_f32_e32 v3, v6, v3
	v_fmac_f32_e32 v3, v7, v2
	v_fma_f32 v4, v6, v2, -v4
	v_add_f32_e32 v1, v1, v3
	s_waitcnt lgkmcnt(0)
	v_mul_f32_e32 v2, v29, v25
	v_mul_f32_e32 v3, v28, v25
	v_add_f32_e32 v0, v0, v4
	v_fma_f32 v2, v28, v24, -v2
	v_fmac_f32_e32 v3, v29, v24
	v_add_f32_e32 v0, v0, v2
	v_add_f32_e32 v1, v1, v3
	v_mul_f32_e32 v2, v31, v27
	v_mul_f32_e32 v3, v30, v27
	v_fma_f32 v2, v30, v26, -v2
	v_fmac_f32_e32 v3, v31, v26
	v_add_f32_e32 v0, v0, v2
	v_add_f32_e32 v2, v1, v3
	v_pk_mul_f32 v[2:3], s[0:1], v[2:3] op_sel_hi:[1,0]
	s_nop 0
	v_pk_fma_f32 v[4:5], s[12:13], v[0:1], v[2:3] neg_lo:[0,0,1] neg_hi:[0,0,1]
	v_pk_fma_f32 v[0:1], s[12:13], v[0:1], v[2:3] op_sel_hi:[1,0,1]
	s_nop 0
	v_mov_b32_e32 v5, v1
	s_waitcnt vmcnt(0)
	v_pk_add_f32 v[0:1], v[32:33], v[4:5]
	flat_store_dwordx2 v[12:13], v[0:1]
	s_branch .LBB49_6
.LBB49_13:
	s_endpgm
	.section	.rodata,"a",@progbits
	.p2align	6, 0x0
	.amdhsa_kernel _ZL24rocblas_symm_hemm_kernelILb0ELb1ELi32E19rocblas_complex_numIfEPKPKS1_PKPS1_EvbiiT2_T3_lllSA_lllT4_llli
		.amdhsa_group_segment_fixed_size 16384
		.amdhsa_private_segment_fixed_size 0
		.amdhsa_kernarg_size 384
		.amdhsa_user_sgpr_count 2
		.amdhsa_user_sgpr_dispatch_ptr 0
		.amdhsa_user_sgpr_queue_ptr 0
		.amdhsa_user_sgpr_kernarg_segment_ptr 1
		.amdhsa_user_sgpr_dispatch_id 0
		.amdhsa_user_sgpr_kernarg_preload_length 0
		.amdhsa_user_sgpr_kernarg_preload_offset 0
		.amdhsa_user_sgpr_private_segment_size 0
		.amdhsa_uses_dynamic_stack 0
		.amdhsa_enable_private_segment 0
		.amdhsa_system_sgpr_workgroup_id_x 1
		.amdhsa_system_sgpr_workgroup_id_y 1
		.amdhsa_system_sgpr_workgroup_id_z 1
		.amdhsa_system_sgpr_workgroup_info 0
		.amdhsa_system_vgpr_workitem_id 1
		.amdhsa_next_free_vgpr 40
		.amdhsa_next_free_sgpr 40
		.amdhsa_accum_offset 40
		.amdhsa_reserve_vcc 1
		.amdhsa_float_round_mode_32 0
		.amdhsa_float_round_mode_16_64 0
		.amdhsa_float_denorm_mode_32 3
		.amdhsa_float_denorm_mode_16_64 3
		.amdhsa_dx10_clamp 1
		.amdhsa_ieee_mode 1
		.amdhsa_fp16_overflow 0
		.amdhsa_tg_split 0
		.amdhsa_exception_fp_ieee_invalid_op 0
		.amdhsa_exception_fp_denorm_src 0
		.amdhsa_exception_fp_ieee_div_zero 0
		.amdhsa_exception_fp_ieee_overflow 0
		.amdhsa_exception_fp_ieee_underflow 0
		.amdhsa_exception_fp_ieee_inexact 0
		.amdhsa_exception_int_div_zero 0
	.end_amdhsa_kernel
	.section	.text._ZL24rocblas_symm_hemm_kernelILb0ELb1ELi32E19rocblas_complex_numIfEPKPKS1_PKPS1_EvbiiT2_T3_lllSA_lllT4_llli,"axG",@progbits,_ZL24rocblas_symm_hemm_kernelILb0ELb1ELi32E19rocblas_complex_numIfEPKPKS1_PKPS1_EvbiiT2_T3_lllSA_lllT4_llli,comdat
.Lfunc_end49:
	.size	_ZL24rocblas_symm_hemm_kernelILb0ELb1ELi32E19rocblas_complex_numIfEPKPKS1_PKPS1_EvbiiT2_T3_lllSA_lllT4_llli, .Lfunc_end49-_ZL24rocblas_symm_hemm_kernelILb0ELb1ELi32E19rocblas_complex_numIfEPKPKS1_PKPS1_EvbiiT2_T3_lllSA_lllT4_llli
                                        ; -- End function
	.set _ZL24rocblas_symm_hemm_kernelILb0ELb1ELi32E19rocblas_complex_numIfEPKPKS1_PKPS1_EvbiiT2_T3_lllSA_lllT4_llli.num_vgpr, 40
	.set _ZL24rocblas_symm_hemm_kernelILb0ELb1ELi32E19rocblas_complex_numIfEPKPKS1_PKPS1_EvbiiT2_T3_lllSA_lllT4_llli.num_agpr, 0
	.set _ZL24rocblas_symm_hemm_kernelILb0ELb1ELi32E19rocblas_complex_numIfEPKPKS1_PKPS1_EvbiiT2_T3_lllSA_lllT4_llli.numbered_sgpr, 40
	.set _ZL24rocblas_symm_hemm_kernelILb0ELb1ELi32E19rocblas_complex_numIfEPKPKS1_PKPS1_EvbiiT2_T3_lllSA_lllT4_llli.num_named_barrier, 0
	.set _ZL24rocblas_symm_hemm_kernelILb0ELb1ELi32E19rocblas_complex_numIfEPKPKS1_PKPS1_EvbiiT2_T3_lllSA_lllT4_llli.private_seg_size, 0
	.set _ZL24rocblas_symm_hemm_kernelILb0ELb1ELi32E19rocblas_complex_numIfEPKPKS1_PKPS1_EvbiiT2_T3_lllSA_lllT4_llli.uses_vcc, 1
	.set _ZL24rocblas_symm_hemm_kernelILb0ELb1ELi32E19rocblas_complex_numIfEPKPKS1_PKPS1_EvbiiT2_T3_lllSA_lllT4_llli.uses_flat_scratch, 0
	.set _ZL24rocblas_symm_hemm_kernelILb0ELb1ELi32E19rocblas_complex_numIfEPKPKS1_PKPS1_EvbiiT2_T3_lllSA_lllT4_llli.has_dyn_sized_stack, 0
	.set _ZL24rocblas_symm_hemm_kernelILb0ELb1ELi32E19rocblas_complex_numIfEPKPKS1_PKPS1_EvbiiT2_T3_lllSA_lllT4_llli.has_recursion, 0
	.set _ZL24rocblas_symm_hemm_kernelILb0ELb1ELi32E19rocblas_complex_numIfEPKPKS1_PKPS1_EvbiiT2_T3_lllSA_lllT4_llli.has_indirect_call, 0
	.section	.AMDGPU.csdata,"",@progbits
; Kernel info:
; codeLenInByte = 2048
; TotalNumSgprs: 46
; NumVgprs: 40
; NumAgprs: 0
; TotalNumVgprs: 40
; ScratchSize: 0
; MemoryBound: 0
; FloatMode: 240
; IeeeMode: 1
; LDSByteSize: 16384 bytes/workgroup (compile time only)
; SGPRBlocks: 5
; VGPRBlocks: 4
; NumSGPRsForWavesPerEU: 46
; NumVGPRsForWavesPerEU: 40
; AccumOffset: 40
; Occupancy: 8
; WaveLimiterHint : 1
; COMPUTE_PGM_RSRC2:SCRATCH_EN: 0
; COMPUTE_PGM_RSRC2:USER_SGPR: 2
; COMPUTE_PGM_RSRC2:TRAP_HANDLER: 0
; COMPUTE_PGM_RSRC2:TGID_X_EN: 1
; COMPUTE_PGM_RSRC2:TGID_Y_EN: 1
; COMPUTE_PGM_RSRC2:TGID_Z_EN: 1
; COMPUTE_PGM_RSRC2:TIDIG_COMP_CNT: 1
; COMPUTE_PGM_RSRC3_GFX90A:ACCUM_OFFSET: 9
; COMPUTE_PGM_RSRC3_GFX90A:TG_SPLIT: 0
	.section	.text._ZL25rocblas_symm_scale_kernelILi128ELi8EPK19rocblas_complex_numIdEPKPS1_EviiT1_T2_llli,"axG",@progbits,_ZL25rocblas_symm_scale_kernelILi128ELi8EPK19rocblas_complex_numIdEPKPS1_EviiT1_T2_llli,comdat
	.globl	_ZL25rocblas_symm_scale_kernelILi128ELi8EPK19rocblas_complex_numIdEPKPS1_EviiT1_T2_llli ; -- Begin function _ZL25rocblas_symm_scale_kernelILi128ELi8EPK19rocblas_complex_numIdEPKPS1_EviiT1_T2_llli
	.p2align	8
	.type	_ZL25rocblas_symm_scale_kernelILi128ELi8EPK19rocblas_complex_numIdEPKPS1_EviiT1_T2_llli,@function
_ZL25rocblas_symm_scale_kernelILi128ELi8EPK19rocblas_complex_numIdEPKPS1_EviiT1_T2_llli: ; @_ZL25rocblas_symm_scale_kernelILi128ELi8EPK19rocblas_complex_numIdEPKPS1_EviiT1_T2_llli
; %bb.0:
	s_load_dwordx8 s[8:15], s[0:1], 0x8
	s_waitcnt lgkmcnt(0)
	s_load_dwordx4 s[16:19], s[8:9], 0x0
	s_waitcnt lgkmcnt(0)
	v_cmp_eq_f64_e64 s[6:7], s[16:17], 1.0
	v_cmp_eq_f64_e64 s[8:9], s[18:19], 0
	s_and_b64 s[6:7], s[6:7], s[8:9]
	s_and_b64 vcc, exec, s[6:7]
	s_cbranch_vccnz .LBB50_6
; %bb.1:
	s_load_dwordx2 s[8:9], s[0:1], 0x0
	v_and_b32_e32 v1, 0x3ff, v0
	v_bfe_u32 v0, v0, 10, 10
	v_lshl_add_u32 v2, s2, 7, v1
	v_lshl_add_u32 v4, s3, 3, v0
	v_mov_b32_e32 v5, 0
	s_waitcnt lgkmcnt(0)
	s_ashr_i32 s7, s9, 31
	s_mov_b32 s6, s9
	v_cmp_gt_u32_e32 vcc, s8, v2
	v_cmp_gt_i64_e64 s[2:3], s[6:7], v[4:5]
	s_and_b64 s[2:3], vcc, s[2:3]
	s_and_saveexec_b64 s[8:9], s[2:3]
	s_cbranch_execz .LBB50_6
; %bb.2:
	s_mov_b32 s5, 0
	s_lshl_b64 s[2:3], s[4:5], 3
	s_add_u32 s2, s10, s2
	s_addc_u32 s3, s11, s3
	s_load_dwordx2 s[8:9], s[2:3], 0x0
	s_load_dword s4, s[0:1], 0x3c
	v_mad_u64_u32 v[0:1], s[20:21], s14, v4, 0
	v_mov_b32_e32 v6, v1
	v_mad_u64_u32 v[6:7], s[20:21], s15, v4, v[6:7]
	v_mov_b32_e32 v1, v6
	s_lshl_b64 s[12:13], s[12:13], 4
	v_mov_b32_e32 v3, v5
	v_lshl_add_u64 v[0:1], v[0:1], 4, s[12:13]
	v_cmp_neq_f64_e64 s[0:1], s[16:17], 0
	v_cmp_neq_f64_e64 s[10:11], s[18:19], 0
	s_waitcnt lgkmcnt(0)
	s_lshl_b32 s4, s4, 3
	v_lshl_add_u64 v[0:1], v[2:3], 4, v[0:1]
	v_lshl_add_u64 v[6:7], s[8:9], 0, v[0:1]
	s_mul_i32 s8, s15, s4
	s_mul_hi_u32 s9, s14, s4
	s_or_b64 s[0:1], s[0:1], s[10:11]
	s_add_i32 s9, s9, s8
	s_mul_i32 s8, s14, s4
	v_cndmask_b32_e64 v0, 0, 1, s[0:1]
	s_mov_b64 s[2:3], 0
	s_lshl_b64 s[8:9], s[8:9], 4
	v_cmp_ne_u32_e64 s[0:1], 1, v0
	s_branch .LBB50_4
.LBB50_3:                               ;   in Loop: Header=BB50_4 Depth=1
	v_lshl_add_u64 v[4:5], v[4:5], 0, s[4:5]
	v_cmp_le_i64_e32 vcc, s[6:7], v[4:5]
	flat_store_dwordx4 v[6:7], v[0:3]
	s_or_b64 s[2:3], vcc, s[2:3]
	v_lshl_add_u64 v[6:7], v[6:7], 0, s[8:9]
	s_andn2_b64 exec, exec, s[2:3]
	s_cbranch_execz .LBB50_6
.LBB50_4:                               ; =>This Inner Loop Header: Depth=1
	v_mov_b64_e32 v[2:3], 0
	s_and_b64 vcc, exec, s[0:1]
	v_mov_b64_e32 v[0:1], 0
	s_cbranch_vccnz .LBB50_3
; %bb.5:                                ;   in Loop: Header=BB50_4 Depth=1
	flat_load_dwordx4 v[8:11], v[6:7]
	s_waitcnt vmcnt(0) lgkmcnt(0)
	v_mul_f64 v[0:1], s[18:19], v[10:11]
	v_mul_f64 v[2:3], s[16:17], v[10:11]
	v_fma_f64 v[0:1], s[16:17], v[8:9], -v[0:1]
	v_fmac_f64_e32 v[2:3], s[18:19], v[8:9]
	s_branch .LBB50_3
.LBB50_6:
	s_endpgm
	.section	.rodata,"a",@progbits
	.p2align	6, 0x0
	.amdhsa_kernel _ZL25rocblas_symm_scale_kernelILi128ELi8EPK19rocblas_complex_numIdEPKPS1_EviiT1_T2_llli
		.amdhsa_group_segment_fixed_size 0
		.amdhsa_private_segment_fixed_size 0
		.amdhsa_kernarg_size 312
		.amdhsa_user_sgpr_count 2
		.amdhsa_user_sgpr_dispatch_ptr 0
		.amdhsa_user_sgpr_queue_ptr 0
		.amdhsa_user_sgpr_kernarg_segment_ptr 1
		.amdhsa_user_sgpr_dispatch_id 0
		.amdhsa_user_sgpr_kernarg_preload_length 0
		.amdhsa_user_sgpr_kernarg_preload_offset 0
		.amdhsa_user_sgpr_private_segment_size 0
		.amdhsa_uses_dynamic_stack 0
		.amdhsa_enable_private_segment 0
		.amdhsa_system_sgpr_workgroup_id_x 1
		.amdhsa_system_sgpr_workgroup_id_y 1
		.amdhsa_system_sgpr_workgroup_id_z 1
		.amdhsa_system_sgpr_workgroup_info 0
		.amdhsa_system_vgpr_workitem_id 1
		.amdhsa_next_free_vgpr 12
		.amdhsa_next_free_sgpr 22
		.amdhsa_accum_offset 12
		.amdhsa_reserve_vcc 1
		.amdhsa_float_round_mode_32 0
		.amdhsa_float_round_mode_16_64 0
		.amdhsa_float_denorm_mode_32 3
		.amdhsa_float_denorm_mode_16_64 3
		.amdhsa_dx10_clamp 1
		.amdhsa_ieee_mode 1
		.amdhsa_fp16_overflow 0
		.amdhsa_tg_split 0
		.amdhsa_exception_fp_ieee_invalid_op 0
		.amdhsa_exception_fp_denorm_src 0
		.amdhsa_exception_fp_ieee_div_zero 0
		.amdhsa_exception_fp_ieee_overflow 0
		.amdhsa_exception_fp_ieee_underflow 0
		.amdhsa_exception_fp_ieee_inexact 0
		.amdhsa_exception_int_div_zero 0
	.end_amdhsa_kernel
	.section	.text._ZL25rocblas_symm_scale_kernelILi128ELi8EPK19rocblas_complex_numIdEPKPS1_EviiT1_T2_llli,"axG",@progbits,_ZL25rocblas_symm_scale_kernelILi128ELi8EPK19rocblas_complex_numIdEPKPS1_EviiT1_T2_llli,comdat
.Lfunc_end50:
	.size	_ZL25rocblas_symm_scale_kernelILi128ELi8EPK19rocblas_complex_numIdEPKPS1_EviiT1_T2_llli, .Lfunc_end50-_ZL25rocblas_symm_scale_kernelILi128ELi8EPK19rocblas_complex_numIdEPKPS1_EviiT1_T2_llli
                                        ; -- End function
	.set _ZL25rocblas_symm_scale_kernelILi128ELi8EPK19rocblas_complex_numIdEPKPS1_EviiT1_T2_llli.num_vgpr, 12
	.set _ZL25rocblas_symm_scale_kernelILi128ELi8EPK19rocblas_complex_numIdEPKPS1_EviiT1_T2_llli.num_agpr, 0
	.set _ZL25rocblas_symm_scale_kernelILi128ELi8EPK19rocblas_complex_numIdEPKPS1_EviiT1_T2_llli.numbered_sgpr, 22
	.set _ZL25rocblas_symm_scale_kernelILi128ELi8EPK19rocblas_complex_numIdEPKPS1_EviiT1_T2_llli.num_named_barrier, 0
	.set _ZL25rocblas_symm_scale_kernelILi128ELi8EPK19rocblas_complex_numIdEPKPS1_EviiT1_T2_llli.private_seg_size, 0
	.set _ZL25rocblas_symm_scale_kernelILi128ELi8EPK19rocblas_complex_numIdEPKPS1_EviiT1_T2_llli.uses_vcc, 1
	.set _ZL25rocblas_symm_scale_kernelILi128ELi8EPK19rocblas_complex_numIdEPKPS1_EviiT1_T2_llli.uses_flat_scratch, 0
	.set _ZL25rocblas_symm_scale_kernelILi128ELi8EPK19rocblas_complex_numIdEPKPS1_EviiT1_T2_llli.has_dyn_sized_stack, 0
	.set _ZL25rocblas_symm_scale_kernelILi128ELi8EPK19rocblas_complex_numIdEPKPS1_EviiT1_T2_llli.has_recursion, 0
	.set _ZL25rocblas_symm_scale_kernelILi128ELi8EPK19rocblas_complex_numIdEPKPS1_EviiT1_T2_llli.has_indirect_call, 0
	.section	.AMDGPU.csdata,"",@progbits
; Kernel info:
; codeLenInByte = 396
; TotalNumSgprs: 28
; NumVgprs: 12
; NumAgprs: 0
; TotalNumVgprs: 12
; ScratchSize: 0
; MemoryBound: 0
; FloatMode: 240
; IeeeMode: 1
; LDSByteSize: 0 bytes/workgroup (compile time only)
; SGPRBlocks: 3
; VGPRBlocks: 1
; NumSGPRsForWavesPerEU: 28
; NumVGPRsForWavesPerEU: 12
; AccumOffset: 12
; Occupancy: 8
; WaveLimiterHint : 0
; COMPUTE_PGM_RSRC2:SCRATCH_EN: 0
; COMPUTE_PGM_RSRC2:USER_SGPR: 2
; COMPUTE_PGM_RSRC2:TRAP_HANDLER: 0
; COMPUTE_PGM_RSRC2:TGID_X_EN: 1
; COMPUTE_PGM_RSRC2:TGID_Y_EN: 1
; COMPUTE_PGM_RSRC2:TGID_Z_EN: 1
; COMPUTE_PGM_RSRC2:TIDIG_COMP_CNT: 1
; COMPUTE_PGM_RSRC3_GFX90A:ACCUM_OFFSET: 2
; COMPUTE_PGM_RSRC3_GFX90A:TG_SPLIT: 0
	.section	.text._ZL24rocblas_symm_hemm_kernelILb0ELb0ELi32EPK19rocblas_complex_numIdEPKS3_PKPS1_EvbiiT2_T3_lllSA_lllT4_llli,"axG",@progbits,_ZL24rocblas_symm_hemm_kernelILb0ELb0ELi32EPK19rocblas_complex_numIdEPKS3_PKPS1_EvbiiT2_T3_lllSA_lllT4_llli,comdat
	.globl	_ZL24rocblas_symm_hemm_kernelILb0ELb0ELi32EPK19rocblas_complex_numIdEPKS3_PKPS1_EvbiiT2_T3_lllSA_lllT4_llli ; -- Begin function _ZL24rocblas_symm_hemm_kernelILb0ELb0ELi32EPK19rocblas_complex_numIdEPKS3_PKPS1_EvbiiT2_T3_lllSA_lllT4_llli
	.p2align	8
	.type	_ZL24rocblas_symm_hemm_kernelILb0ELb0ELi32EPK19rocblas_complex_numIdEPKS3_PKPS1_EvbiiT2_T3_lllSA_lllT4_llli,@function
_ZL24rocblas_symm_hemm_kernelILb0ELb0ELi32EPK19rocblas_complex_numIdEPKS3_PKPS1_EvbiiT2_T3_lllSA_lllT4_llli: ; @_ZL24rocblas_symm_hemm_kernelILb0ELb0ELi32EPK19rocblas_complex_numIdEPKS3_PKPS1_EvbiiT2_T3_lllSA_lllT4_llli
; %bb.0:
	s_load_dwordx8 s[8:15], s[0:1], 0x10
	s_waitcnt lgkmcnt(0)
	s_load_dwordx4 s[16:19], s[8:9], 0x0
	s_waitcnt lgkmcnt(0)
	v_cmp_eq_f64_e64 s[6:7], s[16:17], 0
	v_cmp_eq_f64_e64 s[8:9], s[18:19], 0
	s_and_b64 s[6:7], s[6:7], s[8:9]
	s_and_b64 vcc, exec, s[6:7]
	s_cbranch_vccnz .LBB51_13
; %bb.1:
	s_load_dwordx4 s[20:23], s[0:1], 0x0
	s_waitcnt lgkmcnt(0)
	s_add_i32 s5, s22, -1
	s_ashr_i32 s6, s5, 31
	s_lshr_b32 s6, s6, 27
	s_add_i32 s5, s5, s6
	s_ashr_i32 s23, s5, 5
	s_cmp_gt_i32 s3, s23
	s_cbranch_scc1 .LBB51_13
; %bb.2:
	s_mov_b32 s5, 0
	s_lshl_b64 s[8:9], s[4:5], 3
	s_add_u32 s24, s10, s8
	s_addc_u32 s25, s11, s9
	s_load_dwordx2 s[26:27], s[24:25], 0x0
	s_load_dwordx4 s[4:7], s[0:1], 0x38
	s_load_dwordx2 s[10:11], s[0:1], 0x48
	s_lshl_b64 s[12:13], s[12:13], 4
	v_and_b32_e32 v30, 0x3ff, v0
	s_waitcnt lgkmcnt(0)
	s_add_u32 s12, s26, s12
	s_addc_u32 s13, s27, s13
	s_add_u32 s4, s4, s8
	s_addc_u32 s5, s5, s9
	s_load_dwordx2 s[26:27], s[4:5], 0x0
	s_load_dwordx4 s[28:31], s[0:1], 0x58
	s_load_dwordx2 s[24:25], s[0:1], 0x68
	s_lshl_b64 s[4:5], s[6:7], 4
	v_lshl_add_u32 v16, s2, 5, v30
	s_waitcnt lgkmcnt(0)
	s_add_u32 s26, s26, s4
	s_addc_u32 s27, s27, s5
	s_add_u32 s4, s28, s8
	s_addc_u32 s5, s29, s9
	s_load_dwordx2 s[4:5], s[4:5], 0x0
	s_bitcmp1_b32 s20, 0
	s_cselect_b64 s[6:7], -1, 0
	s_lshl_b64 s[8:9], s[30:31], 4
	s_load_dword s2, s[0:1], 0x84
	s_waitcnt lgkmcnt(0)
	s_add_u32 s4, s4, s8
	s_addc_u32 s5, s5, s9
	v_bfe_u32 v31, v0, 10, 10
	s_cmp_gt_i32 s21, 0
	v_lshlrev_b32_e32 v32, 9, v30
	v_lshlrev_b32_e32 v0, 4, v31
	s_cselect_b64 s[0:1], -1, 0
	v_add_u32_e32 v33, v32, v0
	v_or_b32_e32 v34, 0x4000, v0
	v_ashrrev_i32_e32 v17, 31, v16
	v_cndmask_b32_e64 v0, 0, 1, s[0:1]
	v_add_u32_e32 v35, v34, v32
	v_cmp_gt_i32_e64 s[8:9], s21, v16
	v_lshl_add_u64 v[18:19], v[16:17], 4, s[4:5]
	v_cmp_ne_u32_e64 s[4:5], 1, v0
	s_branch .LBB51_4
.LBB51_3:                               ;   in Loop: Header=BB51_4 Depth=1
	s_add_i32 s3, s3, s2
	s_cmp_gt_i32 s3, s23
	s_cbranch_scc1 .LBB51_13
.LBB51_4:                               ; =>This Loop Header: Depth=1
                                        ;     Child Loop BB51_7 Depth 2
	s_and_b64 vcc, exec, s[4:5]
	s_cbranch_vccnz .LBB51_3
; %bb.5:                                ;   in Loop: Header=BB51_4 Depth=1
	v_lshl_add_u32 v2, s3, 5, v31
	v_ashrrev_i32_e32 v3, 31, v2
	v_mul_lo_u32 v4, s10, v3
	v_mul_lo_u32 v5, s11, v2
	v_mad_u64_u32 v[0:1], s[0:1], s10, v2, 0
	v_add3_u32 v1, v1, v4, v5
	v_lshl_add_u64 v[20:21], v[0:1], 4, s[26:27]
	v_mul_lo_u32 v3, s24, v3
	v_mul_lo_u32 v4, s25, v2
	v_mad_u64_u32 v[0:1], s[0:1], s24, v2, 0
	v_cmp_gt_i32_e32 vcc, s22, v2
	v_add3_u32 v1, v1, v3, v4
	s_and_b64 s[28:29], s[8:9], vcc
	v_lshl_add_u64 v[22:23], v[0:1], 4, v[18:19]
	s_mov_b32 s20, 0
	s_branch .LBB51_7
.LBB51_6:                               ;   in Loop: Header=BB51_7 Depth=2
	s_or_b64 exec, exec, s[0:1]
	s_add_i32 s20, s20, 32
	s_cmp_ge_i32 s20, s21
	s_waitcnt lgkmcnt(0)
	s_barrier
	s_cbranch_scc1 .LBB51_3
.LBB51_7:                               ;   Parent Loop BB51_4 Depth=1
                                        ; =>  This Inner Loop Header: Depth=2
	v_add_u32_e32 v0, s20, v31
	v_cndmask_b32_e64 v1, v0, v16, s[6:7]
	v_cndmask_b32_e64 v2, v16, v0, s[6:7]
	v_cmp_gt_i32_e64 s[0:1], v1, v2
	v_mov_b64_e32 v[2:3], 0
	v_mov_b64_e32 v[4:5], 0
	v_cndmask_b32_e64 v6, v16, v0, s[0:1]
	v_cndmask_b32_e64 v7, v0, v16, s[0:1]
	v_max_i32_e32 v0, v6, v7
	v_cmp_gt_i32_e64 s[0:1], s21, v0
	v_mov_b64_e32 v[0:1], 0
	s_and_saveexec_b64 s[30:31], s[0:1]
	s_cbranch_execz .LBB51_9
; %bb.8:                                ;   in Loop: Header=BB51_7 Depth=2
	v_ashrrev_i32_e32 v2, 31, v7
	v_mul_lo_u32 v4, s15, v7
	v_mul_lo_u32 v5, s14, v2
	v_mad_u64_u32 v[2:3], s[0:1], s14, v7, 0
	v_add3_u32 v3, v3, v5, v4
	v_ashrrev_i32_e32 v7, 31, v6
	v_lshl_add_u64 v[2:3], v[2:3], 4, s[12:13]
	v_lshl_add_u64 v[2:3], v[6:7], 4, v[2:3]
	flat_load_dwordx4 v[2:5], v[2:3]
.LBB51_9:                               ;   in Loop: Header=BB51_7 Depth=2
	s_or_b64 exec, exec, s[30:31]
	s_waitcnt vmcnt(0) lgkmcnt(0)
	ds_write_b128 v33, v[2:5]
	v_add_u32_e32 v4, s20, v30
	v_cmp_gt_i32_e64 s[0:1], s21, v4
	s_and_b64 s[30:31], s[0:1], vcc
	v_mov_b64_e32 v[2:3], 0
	s_and_saveexec_b64 s[0:1], s[30:31]
	s_cbranch_execz .LBB51_11
; %bb.10:                               ;   in Loop: Header=BB51_7 Depth=2
	v_ashrrev_i32_e32 v5, 31, v4
	v_lshl_add_u64 v[0:1], v[4:5], 4, v[20:21]
	flat_load_dwordx4 v[0:3], v[0:1]
.LBB51_11:                              ;   in Loop: Header=BB51_7 Depth=2
	s_or_b64 exec, exec, s[0:1]
	s_waitcnt vmcnt(0) lgkmcnt(0)
	ds_write_b128 v35, v[0:3]
	s_waitcnt lgkmcnt(0)
	s_barrier
	s_and_saveexec_b64 s[0:1], s[28:29]
	s_cbranch_execz .LBB51_6
; %bb.12:                               ;   in Loop: Header=BB51_7 Depth=2
	ds_read_b128 v[0:3], v34
	ds_read_b128 v[4:7], v32
	ds_read_b128 v[8:11], v32 offset:16
	ds_read_b128 v[12:15], v32 offset:32
	;; [unrolled: 1-line block ×4, first 2 shown]
	s_waitcnt lgkmcnt(4)
	v_mul_f64 v[28:29], v[2:3], v[6:7]
	v_fma_f64 v[28:29], v[0:1], v[4:5], -v[28:29]
	v_mul_f64 v[0:1], v[0:1], v[6:7]
	v_fmac_f64_e32 v[0:1], v[2:3], v[4:5]
	v_add_f64 v[6:7], v[0:1], 0
	s_waitcnt lgkmcnt(0)
	v_mul_f64 v[0:1], v[38:39], v[10:11]
	v_add_f64 v[4:5], v[28:29], 0
	v_fma_f64 v[28:29], v[36:37], v[8:9], -v[0:1]
	ds_read_b128 v[0:3], v34 offset:1024
	v_mul_f64 v[10:11], v[36:37], v[10:11]
	v_fmac_f64_e32 v[10:11], v[38:39], v[8:9]
	v_add_f64 v[8:9], v[4:5], v[28:29]
	v_add_f64 v[10:11], v[6:7], v[10:11]
	ds_read_b128 v[4:7], v34 offset:1536
	s_waitcnt lgkmcnt(1)
	v_mul_f64 v[28:29], v[2:3], v[14:15]
	v_fma_f64 v[28:29], v[0:1], v[12:13], -v[28:29]
	v_mul_f64 v[0:1], v[0:1], v[14:15]
	v_fmac_f64_e32 v[0:1], v[2:3], v[12:13]
	v_add_f64 v[10:11], v[10:11], v[0:1]
	s_waitcnt lgkmcnt(0)
	v_mul_f64 v[0:1], v[6:7], v[26:27]
	v_mul_f64 v[14:15], v[4:5], v[26:27]
	v_fma_f64 v[12:13], v[4:5], v[24:25], -v[0:1]
	v_fmac_f64_e32 v[14:15], v[6:7], v[24:25]
	ds_read_b128 v[0:3], v34 offset:2048
	ds_read_b128 v[4:7], v32 offset:64
	v_add_f64 v[8:9], v[8:9], v[28:29]
	v_add_f64 v[24:25], v[8:9], v[12:13]
	;; [unrolled: 1-line block ×3, first 2 shown]
	ds_read_b128 v[8:11], v34 offset:2560
	ds_read_b128 v[12:15], v32 offset:80
	s_waitcnt lgkmcnt(2)
	v_mul_f64 v[28:29], v[2:3], v[6:7]
	v_fma_f64 v[28:29], v[0:1], v[4:5], -v[28:29]
	v_mul_f64 v[0:1], v[0:1], v[6:7]
	v_fmac_f64_e32 v[0:1], v[2:3], v[4:5]
	v_add_f64 v[26:27], v[26:27], v[0:1]
	s_waitcnt lgkmcnt(0)
	v_mul_f64 v[0:1], v[10:11], v[14:15]
	v_add_f64 v[24:25], v[24:25], v[28:29]
	v_fma_f64 v[28:29], v[8:9], v[12:13], -v[0:1]
	ds_read_b128 v[0:3], v34 offset:3072
	ds_read_b128 v[4:7], v32 offset:96
	v_mul_f64 v[8:9], v[8:9], v[14:15]
	v_fmac_f64_e32 v[8:9], v[10:11], v[12:13]
	v_add_f64 v[26:27], v[26:27], v[8:9]
	ds_read_b128 v[8:11], v34 offset:3584
	ds_read_b128 v[12:15], v32 offset:112
	v_add_f64 v[24:25], v[24:25], v[28:29]
	s_waitcnt lgkmcnt(2)
	v_mul_f64 v[28:29], v[2:3], v[6:7]
	v_fma_f64 v[28:29], v[0:1], v[4:5], -v[28:29]
	v_mul_f64 v[0:1], v[0:1], v[6:7]
	v_fmac_f64_e32 v[0:1], v[2:3], v[4:5]
	v_add_f64 v[26:27], v[26:27], v[0:1]
	s_waitcnt lgkmcnt(0)
	v_mul_f64 v[0:1], v[10:11], v[14:15]
	v_add_f64 v[24:25], v[24:25], v[28:29]
	v_fma_f64 v[28:29], v[8:9], v[12:13], -v[0:1]
	ds_read_b128 v[0:3], v34 offset:4096
	ds_read_b128 v[4:7], v32 offset:128
	v_mul_f64 v[8:9], v[8:9], v[14:15]
	v_fmac_f64_e32 v[8:9], v[10:11], v[12:13]
	v_add_f64 v[26:27], v[26:27], v[8:9]
	ds_read_b128 v[8:11], v34 offset:4608
	ds_read_b128 v[12:15], v32 offset:144
	v_add_f64 v[24:25], v[24:25], v[28:29]
	;; [unrolled: 18-line block ×8, first 2 shown]
	s_waitcnt lgkmcnt(2)
	v_mul_f64 v[28:29], v[2:3], v[6:7]
	v_fma_f64 v[28:29], v[0:1], v[4:5], -v[28:29]
	v_mul_f64 v[0:1], v[0:1], v[6:7]
	v_fmac_f64_e32 v[0:1], v[2:3], v[4:5]
	v_add_f64 v[26:27], v[26:27], v[0:1]
	s_waitcnt lgkmcnt(0)
	v_mul_f64 v[0:1], v[10:11], v[14:15]
	v_add_f64 v[24:25], v[24:25], v[28:29]
	v_fma_f64 v[28:29], v[8:9], v[12:13], -v[0:1]
	v_mul_f64 v[8:9], v[8:9], v[14:15]
	v_fmac_f64_e32 v[8:9], v[10:11], v[12:13]
	ds_read_b128 v[0:3], v34 offset:11264
	ds_read_b128 v[4:7], v32 offset:352
	v_add_f64 v[26:27], v[26:27], v[8:9]
	ds_read_b128 v[8:11], v34 offset:11776
	ds_read_b128 v[12:15], v32 offset:368
	flat_load_dwordx4 v[36:39], v[22:23]
	v_add_f64 v[24:25], v[24:25], v[28:29]
	s_waitcnt lgkmcnt(0)
	v_mul_f64 v[28:29], v[2:3], v[6:7]
	v_fma_f64 v[28:29], v[0:1], v[4:5], -v[28:29]
	v_mul_f64 v[0:1], v[0:1], v[6:7]
	v_fmac_f64_e32 v[0:1], v[2:3], v[4:5]
	v_add_f64 v[26:27], v[26:27], v[0:1]
	v_mul_f64 v[0:1], v[10:11], v[14:15]
	v_add_f64 v[24:25], v[24:25], v[28:29]
	v_fma_f64 v[28:29], v[8:9], v[12:13], -v[0:1]
	ds_read_b128 v[0:3], v34 offset:12288
	ds_read_b128 v[4:7], v32 offset:384
	v_mul_f64 v[8:9], v[8:9], v[14:15]
	v_fmac_f64_e32 v[8:9], v[10:11], v[12:13]
	v_add_f64 v[26:27], v[26:27], v[8:9]
	ds_read_b128 v[8:11], v34 offset:12800
	ds_read_b128 v[12:15], v32 offset:400
	v_add_f64 v[24:25], v[24:25], v[28:29]
	s_waitcnt lgkmcnt(0)
	v_mul_f64 v[28:29], v[2:3], v[6:7]
	v_fma_f64 v[28:29], v[0:1], v[4:5], -v[28:29]
	v_mul_f64 v[0:1], v[0:1], v[6:7]
	v_fmac_f64_e32 v[0:1], v[2:3], v[4:5]
	v_add_f64 v[26:27], v[26:27], v[0:1]
	v_mul_f64 v[0:1], v[10:11], v[14:15]
	v_add_f64 v[24:25], v[24:25], v[28:29]
	v_fma_f64 v[28:29], v[8:9], v[12:13], -v[0:1]
	ds_read_b128 v[0:3], v34 offset:13312
	ds_read_b128 v[4:7], v32 offset:416
	v_mul_f64 v[8:9], v[8:9], v[14:15]
	v_fmac_f64_e32 v[8:9], v[10:11], v[12:13]
	v_add_f64 v[26:27], v[26:27], v[8:9]
	ds_read_b128 v[8:11], v34 offset:13824
	ds_read_b128 v[12:15], v32 offset:432
	;; [unrolled: 17-line block ×3, first 2 shown]
	v_add_f64 v[24:25], v[24:25], v[28:29]
	s_waitcnt lgkmcnt(0)
	v_mul_f64 v[28:29], v[2:3], v[6:7]
	v_fma_f64 v[28:29], v[0:1], v[4:5], -v[28:29]
	v_mul_f64 v[0:1], v[0:1], v[6:7]
	v_fmac_f64_e32 v[0:1], v[2:3], v[4:5]
	v_add_f64 v[26:27], v[26:27], v[0:1]
	v_mul_f64 v[0:1], v[10:11], v[14:15]
	v_add_f64 v[24:25], v[24:25], v[28:29]
	v_fma_f64 v[28:29], v[8:9], v[12:13], -v[0:1]
	v_mul_f64 v[8:9], v[8:9], v[14:15]
	ds_read_b128 v[0:3], v34 offset:15360
	ds_read_b128 v[4:7], v32 offset:480
	v_fmac_f64_e32 v[8:9], v[10:11], v[12:13]
	v_add_f64 v[26:27], v[26:27], v[8:9]
	ds_read_b128 v[8:11], v34 offset:15872
	ds_read_b128 v[12:15], v32 offset:496
	v_add_f64 v[24:25], v[24:25], v[28:29]
	s_waitcnt lgkmcnt(0)
	v_mul_f64 v[28:29], v[2:3], v[6:7]
	v_fma_f64 v[28:29], v[0:1], v[4:5], -v[28:29]
	v_mul_f64 v[0:1], v[0:1], v[6:7]
	v_fmac_f64_e32 v[0:1], v[2:3], v[4:5]
	v_mul_f64 v[6:7], v[8:9], v[14:15]
	v_add_f64 v[0:1], v[26:27], v[0:1]
	v_mul_f64 v[4:5], v[10:11], v[14:15]
	v_fmac_f64_e32 v[6:7], v[10:11], v[12:13]
	v_add_f64 v[2:3], v[24:25], v[28:29]
	v_fma_f64 v[4:5], v[8:9], v[12:13], -v[4:5]
	v_add_f64 v[0:1], v[0:1], v[6:7]
	v_add_f64 v[2:3], v[2:3], v[4:5]
	v_mul_f64 v[4:5], s[18:19], v[0:1]
	v_fma_f64 v[4:5], s[16:17], v[2:3], -v[4:5]
	v_mul_f64 v[2:3], s[18:19], v[2:3]
	v_fmac_f64_e32 v[2:3], s[16:17], v[0:1]
	s_waitcnt vmcnt(0)
	v_add_f64 v[0:1], v[36:37], v[4:5]
	v_add_f64 v[2:3], v[38:39], v[2:3]
	flat_store_dwordx4 v[22:23], v[0:3]
	s_branch .LBB51_6
.LBB51_13:
	s_endpgm
	.section	.rodata,"a",@progbits
	.p2align	6, 0x0
	.amdhsa_kernel _ZL24rocblas_symm_hemm_kernelILb0ELb0ELi32EPK19rocblas_complex_numIdEPKS3_PKPS1_EvbiiT2_T3_lllSA_lllT4_llli
		.amdhsa_group_segment_fixed_size 32768
		.amdhsa_private_segment_fixed_size 0
		.amdhsa_kernarg_size 384
		.amdhsa_user_sgpr_count 2
		.amdhsa_user_sgpr_dispatch_ptr 0
		.amdhsa_user_sgpr_queue_ptr 0
		.amdhsa_user_sgpr_kernarg_segment_ptr 1
		.amdhsa_user_sgpr_dispatch_id 0
		.amdhsa_user_sgpr_kernarg_preload_length 0
		.amdhsa_user_sgpr_kernarg_preload_offset 0
		.amdhsa_user_sgpr_private_segment_size 0
		.amdhsa_uses_dynamic_stack 0
		.amdhsa_enable_private_segment 0
		.amdhsa_system_sgpr_workgroup_id_x 1
		.amdhsa_system_sgpr_workgroup_id_y 1
		.amdhsa_system_sgpr_workgroup_id_z 1
		.amdhsa_system_sgpr_workgroup_info 0
		.amdhsa_system_vgpr_workitem_id 1
		.amdhsa_next_free_vgpr 40
		.amdhsa_next_free_sgpr 32
		.amdhsa_accum_offset 40
		.amdhsa_reserve_vcc 1
		.amdhsa_float_round_mode_32 0
		.amdhsa_float_round_mode_16_64 0
		.amdhsa_float_denorm_mode_32 3
		.amdhsa_float_denorm_mode_16_64 3
		.amdhsa_dx10_clamp 1
		.amdhsa_ieee_mode 1
		.amdhsa_fp16_overflow 0
		.amdhsa_tg_split 0
		.amdhsa_exception_fp_ieee_invalid_op 0
		.amdhsa_exception_fp_denorm_src 0
		.amdhsa_exception_fp_ieee_div_zero 0
		.amdhsa_exception_fp_ieee_overflow 0
		.amdhsa_exception_fp_ieee_underflow 0
		.amdhsa_exception_fp_ieee_inexact 0
		.amdhsa_exception_int_div_zero 0
	.end_amdhsa_kernel
	.section	.text._ZL24rocblas_symm_hemm_kernelILb0ELb0ELi32EPK19rocblas_complex_numIdEPKS3_PKPS1_EvbiiT2_T3_lllSA_lllT4_llli,"axG",@progbits,_ZL24rocblas_symm_hemm_kernelILb0ELb0ELi32EPK19rocblas_complex_numIdEPKS3_PKPS1_EvbiiT2_T3_lllSA_lllT4_llli,comdat
.Lfunc_end51:
	.size	_ZL24rocblas_symm_hemm_kernelILb0ELb0ELi32EPK19rocblas_complex_numIdEPKS3_PKPS1_EvbiiT2_T3_lllSA_lllT4_llli, .Lfunc_end51-_ZL24rocblas_symm_hemm_kernelILb0ELb0ELi32EPK19rocblas_complex_numIdEPKS3_PKPS1_EvbiiT2_T3_lllSA_lllT4_llli
                                        ; -- End function
	.set _ZL24rocblas_symm_hemm_kernelILb0ELb0ELi32EPK19rocblas_complex_numIdEPKS3_PKPS1_EvbiiT2_T3_lllSA_lllT4_llli.num_vgpr, 40
	.set _ZL24rocblas_symm_hemm_kernelILb0ELb0ELi32EPK19rocblas_complex_numIdEPKS3_PKPS1_EvbiiT2_T3_lllSA_lllT4_llli.num_agpr, 0
	.set _ZL24rocblas_symm_hemm_kernelILb0ELb0ELi32EPK19rocblas_complex_numIdEPKS3_PKPS1_EvbiiT2_T3_lllSA_lllT4_llli.numbered_sgpr, 32
	.set _ZL24rocblas_symm_hemm_kernelILb0ELb0ELi32EPK19rocblas_complex_numIdEPKS3_PKPS1_EvbiiT2_T3_lllSA_lllT4_llli.num_named_barrier, 0
	.set _ZL24rocblas_symm_hemm_kernelILb0ELb0ELi32EPK19rocblas_complex_numIdEPKS3_PKPS1_EvbiiT2_T3_lllSA_lllT4_llli.private_seg_size, 0
	.set _ZL24rocblas_symm_hemm_kernelILb0ELb0ELi32EPK19rocblas_complex_numIdEPKS3_PKPS1_EvbiiT2_T3_lllSA_lllT4_llli.uses_vcc, 1
	.set _ZL24rocblas_symm_hemm_kernelILb0ELb0ELi32EPK19rocblas_complex_numIdEPKS3_PKPS1_EvbiiT2_T3_lllSA_lllT4_llli.uses_flat_scratch, 0
	.set _ZL24rocblas_symm_hemm_kernelILb0ELb0ELi32EPK19rocblas_complex_numIdEPKS3_PKPS1_EvbiiT2_T3_lllSA_lllT4_llli.has_dyn_sized_stack, 0
	.set _ZL24rocblas_symm_hemm_kernelILb0ELb0ELi32EPK19rocblas_complex_numIdEPKS3_PKPS1_EvbiiT2_T3_lllSA_lllT4_llli.has_recursion, 0
	.set _ZL24rocblas_symm_hemm_kernelILb0ELb0ELi32EPK19rocblas_complex_numIdEPKS3_PKPS1_EvbiiT2_T3_lllSA_lllT4_llli.has_indirect_call, 0
	.section	.AMDGPU.csdata,"",@progbits
; Kernel info:
; codeLenInByte = 2828
; TotalNumSgprs: 38
; NumVgprs: 40
; NumAgprs: 0
; TotalNumVgprs: 40
; ScratchSize: 0
; MemoryBound: 1
; FloatMode: 240
; IeeeMode: 1
; LDSByteSize: 32768 bytes/workgroup (compile time only)
; SGPRBlocks: 4
; VGPRBlocks: 4
; NumSGPRsForWavesPerEU: 38
; NumVGPRsForWavesPerEU: 40
; AccumOffset: 40
; Occupancy: 8
; WaveLimiterHint : 1
; COMPUTE_PGM_RSRC2:SCRATCH_EN: 0
; COMPUTE_PGM_RSRC2:USER_SGPR: 2
; COMPUTE_PGM_RSRC2:TRAP_HANDLER: 0
; COMPUTE_PGM_RSRC2:TGID_X_EN: 1
; COMPUTE_PGM_RSRC2:TGID_Y_EN: 1
; COMPUTE_PGM_RSRC2:TGID_Z_EN: 1
; COMPUTE_PGM_RSRC2:TIDIG_COMP_CNT: 1
; COMPUTE_PGM_RSRC3_GFX90A:ACCUM_OFFSET: 9
; COMPUTE_PGM_RSRC3_GFX90A:TG_SPLIT: 0
	.section	.text._ZL24rocblas_symm_hemm_kernelILb0ELb1ELi32EPK19rocblas_complex_numIdEPKS3_PKPS1_EvbiiT2_T3_lllSA_lllT4_llli,"axG",@progbits,_ZL24rocblas_symm_hemm_kernelILb0ELb1ELi32EPK19rocblas_complex_numIdEPKS3_PKPS1_EvbiiT2_T3_lllSA_lllT4_llli,comdat
	.globl	_ZL24rocblas_symm_hemm_kernelILb0ELb1ELi32EPK19rocblas_complex_numIdEPKS3_PKPS1_EvbiiT2_T3_lllSA_lllT4_llli ; -- Begin function _ZL24rocblas_symm_hemm_kernelILb0ELb1ELi32EPK19rocblas_complex_numIdEPKS3_PKPS1_EvbiiT2_T3_lllSA_lllT4_llli
	.p2align	8
	.type	_ZL24rocblas_symm_hemm_kernelILb0ELb1ELi32EPK19rocblas_complex_numIdEPKS3_PKPS1_EvbiiT2_T3_lllSA_lllT4_llli,@function
_ZL24rocblas_symm_hemm_kernelILb0ELb1ELi32EPK19rocblas_complex_numIdEPKS3_PKPS1_EvbiiT2_T3_lllSA_lllT4_llli: ; @_ZL24rocblas_symm_hemm_kernelILb0ELb1ELi32EPK19rocblas_complex_numIdEPKS3_PKPS1_EvbiiT2_T3_lllSA_lllT4_llli
; %bb.0:
	s_load_dwordx8 s[8:15], s[0:1], 0x10
	s_waitcnt lgkmcnt(0)
	s_load_dwordx4 s[16:19], s[8:9], 0x0
	s_waitcnt lgkmcnt(0)
	v_cmp_eq_f64_e64 s[6:7], s[16:17], 0
	v_cmp_eq_f64_e64 s[8:9], s[18:19], 0
	s_and_b64 s[6:7], s[6:7], s[8:9]
	s_and_b64 vcc, exec, s[6:7]
	s_cbranch_vccnz .LBB52_13
; %bb.1:
	s_load_dwordx4 s[20:23], s[0:1], 0x0
	s_waitcnt lgkmcnt(0)
	s_add_i32 s5, s22, -1
	s_ashr_i32 s6, s5, 31
	s_lshr_b32 s6, s6, 27
	s_add_i32 s5, s5, s6
	s_ashr_i32 s23, s5, 5
	s_cmp_gt_i32 s3, s23
	s_cbranch_scc1 .LBB52_13
; %bb.2:
	s_mov_b32 s5, 0
	s_lshl_b64 s[4:5], s[4:5], 3
	s_add_u32 s6, s10, s4
	s_addc_u32 s7, s11, s5
	s_load_dwordx2 s[8:9], s[6:7], 0x0
	s_load_dwordx4 s[28:31], s[0:1], 0x38
	s_load_dwordx2 s[10:11], s[0:1], 0x48
	s_load_dwordx4 s[36:39], s[0:1], 0x58
	s_load_dwordx2 s[24:25], s[0:1], 0x68
	s_lshl_b64 s[6:7], s[12:13], 4
	s_waitcnt lgkmcnt(0)
	s_add_u32 s12, s8, s6
	s_addc_u32 s13, s9, s7
	s_add_u32 s6, s28, s4
	s_addc_u32 s7, s29, s5
	;; [unrolled: 2-line block ×3, first 2 shown]
	s_load_dwordx2 s[8:9], s[4:5], 0x0
	s_load_dwordx2 s[26:27], s[6:7], 0x0
	s_bitcmp1_b32 s20, 0
	s_cselect_b64 s[6:7], -1, 0
	s_lshl_b64 s[4:5], s[38:39], 4
	s_waitcnt lgkmcnt(0)
	s_add_u32 s4, s8, s4
	s_addc_u32 s5, s9, s5
	s_lshl_b64 s[8:9], s[30:31], 4
	s_add_u32 s26, s26, s8
	v_and_b32_e32 v28, 0x3ff, v0
	s_addc_u32 s27, s27, s9
	v_lshl_add_u32 v2, s2, 5, v28
	s_load_dword s2, s[0:1], 0x84
	v_bfe_u32 v29, v0, 10, 10
	s_cmp_gt_i32 s22, 0
	v_ashrrev_i32_e32 v3, 31, v2
	v_cmp_gt_i32_e64 s[8:9], s21, v2
	v_lshlrev_b64 v[0:1], 4, v[2:3]
	v_lshlrev_b32_e32 v2, 4, v29
	s_cselect_b64 s[0:1], -1, 0
	v_lshl_add_u64 v[16:17], s[26:27], 0, v[0:1]
	v_lshlrev_b32_e32 v30, 9, v28
	v_or_b32_e32 v32, 0x4000, v2
	v_lshl_add_u64 v[18:19], s[4:5], 0, v[0:1]
	v_cndmask_b32_e64 v0, 0, 1, s[0:1]
	v_add_u32_e32 v31, v30, v2
	v_add_u32_e32 v33, v32, v30
	v_cmp_ne_u32_e64 s[4:5], 1, v0
	s_branch .LBB52_4
.LBB52_3:                               ;   in Loop: Header=BB52_4 Depth=1
	s_waitcnt lgkmcnt(0)
	s_add_i32 s3, s3, s2
	s_cmp_gt_i32 s3, s23
	s_cbranch_scc1 .LBB52_13
.LBB52_4:                               ; =>This Loop Header: Depth=1
                                        ;     Child Loop BB52_7 Depth 2
	s_and_b64 vcc, exec, s[4:5]
	s_cbranch_vccnz .LBB52_3
; %bb.5:                                ;   in Loop: Header=BB52_4 Depth=1
	v_lshl_add_u32 v34, s3, 5, v29
	v_ashrrev_i32_e32 v0, 31, v34
	v_mul_lo_u32 v2, s24, v0
	v_mul_lo_u32 v3, s25, v34
	v_mad_u64_u32 v[0:1], s[20:21], s24, v34, 0
	v_cmp_gt_i32_e32 vcc, s22, v34
	v_add3_u32 v1, v1, v2, v3
	s_and_b64 s[0:1], s[8:9], vcc
	v_lshl_add_u64 v[20:21], v[0:1], 4, v[18:19]
	s_mov_b32 s26, 0
	s_branch .LBB52_7
.LBB52_6:                               ;   in Loop: Header=BB52_7 Depth=2
	s_or_b64 exec, exec, s[20:21]
	s_add_i32 s26, s26, 32
	s_cmp_ge_i32 s26, s22
	s_waitcnt lgkmcnt(0)
	s_barrier
	s_cbranch_scc1 .LBB52_3
.LBB52_7:                               ;   Parent Loop BB52_4 Depth=1
                                        ; =>  This Inner Loop Header: Depth=2
	v_add_u32_e32 v6, s26, v29
	v_cmp_gt_i32_e32 vcc, s22, v6
	s_and_b64 s[28:29], s[8:9], vcc
	v_mov_b64_e32 v[0:1], 0
	v_mov_b64_e32 v[2:3], 0
	v_mov_b64_e32 v[4:5], 0
	s_and_saveexec_b64 s[20:21], s[28:29]
	s_cbranch_execz .LBB52_9
; %bb.8:                                ;   in Loop: Header=BB52_7 Depth=2
	v_ashrrev_i32_e32 v2, 31, v6
	v_mul_lo_u32 v4, s11, v6
	v_mul_lo_u32 v5, s10, v2
	v_mad_u64_u32 v[2:3], s[28:29], s10, v6, 0
	v_add3_u32 v3, v3, v5, v4
	v_lshl_add_u64 v[2:3], v[2:3], 4, v[16:17]
	flat_load_dwordx4 v[2:5], v[2:3]
.LBB52_9:                               ;   in Loop: Header=BB52_7 Depth=2
	s_or_b64 exec, exec, s[20:21]
	s_waitcnt vmcnt(0) lgkmcnt(0)
	ds_write_b128 v31, v[2:5]
	v_add_u32_e32 v2, s26, v28
	v_cndmask_b32_e64 v3, v34, v2, s[6:7]
	v_cndmask_b32_e64 v4, v2, v34, s[6:7]
	v_cmp_gt_i32_e32 vcc, v3, v4
	s_nop 1
	v_cndmask_b32_e32 v4, v2, v34, vcc
	v_cndmask_b32_e32 v5, v34, v2, vcc
	v_max_i32_e32 v2, v4, v5
	v_cmp_gt_i32_e32 vcc, s22, v2
	v_mov_b64_e32 v[2:3], 0
	s_and_saveexec_b64 s[20:21], vcc
	s_cbranch_execz .LBB52_11
; %bb.10:                               ;   in Loop: Header=BB52_7 Depth=2
	v_ashrrev_i32_e32 v0, 31, v5
	v_mul_lo_u32 v2, s15, v5
	v_mul_lo_u32 v3, s14, v0
	v_mad_u64_u32 v[0:1], s[28:29], s14, v5, 0
	v_add3_u32 v1, v1, v3, v2
	v_ashrrev_i32_e32 v5, 31, v4
	v_lshl_add_u64 v[0:1], v[0:1], 4, s[12:13]
	v_lshl_add_u64 v[0:1], v[4:5], 4, v[0:1]
	flat_load_dwordx4 v[0:3], v[0:1]
.LBB52_11:                              ;   in Loop: Header=BB52_7 Depth=2
	s_or_b64 exec, exec, s[20:21]
	s_waitcnt vmcnt(0) lgkmcnt(0)
	ds_write_b128 v33, v[0:3]
	s_waitcnt lgkmcnt(0)
	s_barrier
	s_and_saveexec_b64 s[20:21], s[0:1]
	s_cbranch_execz .LBB52_6
; %bb.12:                               ;   in Loop: Header=BB52_7 Depth=2
	ds_read_b128 v[0:3], v32
	ds_read_b128 v[4:7], v30
	ds_read_b128 v[8:11], v30 offset:16
	ds_read_b128 v[12:15], v30 offset:32
	;; [unrolled: 1-line block ×4, first 2 shown]
	s_waitcnt lgkmcnt(4)
	v_mul_f64 v[26:27], v[2:3], v[6:7]
	v_fma_f64 v[26:27], v[0:1], v[4:5], -v[26:27]
	v_mul_f64 v[0:1], v[0:1], v[6:7]
	v_fmac_f64_e32 v[0:1], v[2:3], v[4:5]
	v_add_f64 v[6:7], v[0:1], 0
	s_waitcnt lgkmcnt(0)
	v_mul_f64 v[0:1], v[38:39], v[10:11]
	v_add_f64 v[4:5], v[26:27], 0
	v_fma_f64 v[26:27], v[36:37], v[8:9], -v[0:1]
	ds_read_b128 v[0:3], v32 offset:1024
	v_mul_f64 v[10:11], v[36:37], v[10:11]
	v_fmac_f64_e32 v[10:11], v[38:39], v[8:9]
	v_add_f64 v[8:9], v[4:5], v[26:27]
	v_add_f64 v[10:11], v[6:7], v[10:11]
	ds_read_b128 v[4:7], v32 offset:1536
	s_waitcnt lgkmcnt(1)
	v_mul_f64 v[26:27], v[2:3], v[14:15]
	v_fma_f64 v[26:27], v[0:1], v[12:13], -v[26:27]
	v_mul_f64 v[0:1], v[0:1], v[14:15]
	v_fmac_f64_e32 v[0:1], v[2:3], v[12:13]
	v_add_f64 v[10:11], v[10:11], v[0:1]
	s_waitcnt lgkmcnt(0)
	v_mul_f64 v[0:1], v[6:7], v[24:25]
	v_mul_f64 v[14:15], v[4:5], v[24:25]
	v_fma_f64 v[12:13], v[4:5], v[22:23], -v[0:1]
	v_fmac_f64_e32 v[14:15], v[6:7], v[22:23]
	ds_read_b128 v[0:3], v32 offset:2048
	ds_read_b128 v[4:7], v30 offset:64
	v_add_f64 v[8:9], v[8:9], v[26:27]
	v_add_f64 v[22:23], v[8:9], v[12:13]
	;; [unrolled: 1-line block ×3, first 2 shown]
	ds_read_b128 v[8:11], v32 offset:2560
	ds_read_b128 v[12:15], v30 offset:80
	s_waitcnt lgkmcnt(2)
	v_mul_f64 v[26:27], v[2:3], v[6:7]
	v_fma_f64 v[26:27], v[0:1], v[4:5], -v[26:27]
	v_mul_f64 v[0:1], v[0:1], v[6:7]
	v_fmac_f64_e32 v[0:1], v[2:3], v[4:5]
	v_add_f64 v[24:25], v[24:25], v[0:1]
	s_waitcnt lgkmcnt(0)
	v_mul_f64 v[0:1], v[10:11], v[14:15]
	v_add_f64 v[22:23], v[22:23], v[26:27]
	v_fma_f64 v[26:27], v[8:9], v[12:13], -v[0:1]
	ds_read_b128 v[0:3], v32 offset:3072
	ds_read_b128 v[4:7], v30 offset:96
	v_mul_f64 v[8:9], v[8:9], v[14:15]
	v_fmac_f64_e32 v[8:9], v[10:11], v[12:13]
	v_add_f64 v[24:25], v[24:25], v[8:9]
	ds_read_b128 v[8:11], v32 offset:3584
	ds_read_b128 v[12:15], v30 offset:112
	v_add_f64 v[22:23], v[22:23], v[26:27]
	s_waitcnt lgkmcnt(2)
	v_mul_f64 v[26:27], v[2:3], v[6:7]
	v_fma_f64 v[26:27], v[0:1], v[4:5], -v[26:27]
	v_mul_f64 v[0:1], v[0:1], v[6:7]
	v_fmac_f64_e32 v[0:1], v[2:3], v[4:5]
	v_add_f64 v[24:25], v[24:25], v[0:1]
	s_waitcnt lgkmcnt(0)
	v_mul_f64 v[0:1], v[10:11], v[14:15]
	v_add_f64 v[22:23], v[22:23], v[26:27]
	v_fma_f64 v[26:27], v[8:9], v[12:13], -v[0:1]
	ds_read_b128 v[0:3], v32 offset:4096
	ds_read_b128 v[4:7], v30 offset:128
	v_mul_f64 v[8:9], v[8:9], v[14:15]
	v_fmac_f64_e32 v[8:9], v[10:11], v[12:13]
	v_add_f64 v[24:25], v[24:25], v[8:9]
	ds_read_b128 v[8:11], v32 offset:4608
	ds_read_b128 v[12:15], v30 offset:144
	v_add_f64 v[22:23], v[22:23], v[26:27]
	;; [unrolled: 18-line block ×8, first 2 shown]
	s_waitcnt lgkmcnt(2)
	v_mul_f64 v[26:27], v[2:3], v[6:7]
	v_fma_f64 v[26:27], v[0:1], v[4:5], -v[26:27]
	v_mul_f64 v[0:1], v[0:1], v[6:7]
	v_fmac_f64_e32 v[0:1], v[2:3], v[4:5]
	v_add_f64 v[24:25], v[24:25], v[0:1]
	s_waitcnt lgkmcnt(0)
	v_mul_f64 v[0:1], v[10:11], v[14:15]
	v_add_f64 v[22:23], v[22:23], v[26:27]
	v_fma_f64 v[26:27], v[8:9], v[12:13], -v[0:1]
	v_mul_f64 v[8:9], v[8:9], v[14:15]
	v_fmac_f64_e32 v[8:9], v[10:11], v[12:13]
	ds_read_b128 v[0:3], v32 offset:11264
	ds_read_b128 v[4:7], v30 offset:352
	v_add_f64 v[24:25], v[24:25], v[8:9]
	ds_read_b128 v[8:11], v32 offset:11776
	ds_read_b128 v[12:15], v30 offset:368
	flat_load_dwordx4 v[36:39], v[20:21]
	v_add_f64 v[22:23], v[22:23], v[26:27]
	s_waitcnt lgkmcnt(0)
	v_mul_f64 v[26:27], v[2:3], v[6:7]
	v_fma_f64 v[26:27], v[0:1], v[4:5], -v[26:27]
	v_mul_f64 v[0:1], v[0:1], v[6:7]
	v_fmac_f64_e32 v[0:1], v[2:3], v[4:5]
	v_add_f64 v[24:25], v[24:25], v[0:1]
	v_mul_f64 v[0:1], v[10:11], v[14:15]
	v_add_f64 v[22:23], v[22:23], v[26:27]
	v_fma_f64 v[26:27], v[8:9], v[12:13], -v[0:1]
	ds_read_b128 v[0:3], v32 offset:12288
	ds_read_b128 v[4:7], v30 offset:384
	v_mul_f64 v[8:9], v[8:9], v[14:15]
	v_fmac_f64_e32 v[8:9], v[10:11], v[12:13]
	v_add_f64 v[24:25], v[24:25], v[8:9]
	ds_read_b128 v[8:11], v32 offset:12800
	ds_read_b128 v[12:15], v30 offset:400
	v_add_f64 v[22:23], v[22:23], v[26:27]
	s_waitcnt lgkmcnt(0)
	v_mul_f64 v[26:27], v[2:3], v[6:7]
	v_fma_f64 v[26:27], v[0:1], v[4:5], -v[26:27]
	v_mul_f64 v[0:1], v[0:1], v[6:7]
	v_fmac_f64_e32 v[0:1], v[2:3], v[4:5]
	v_add_f64 v[24:25], v[24:25], v[0:1]
	v_mul_f64 v[0:1], v[10:11], v[14:15]
	v_add_f64 v[22:23], v[22:23], v[26:27]
	v_fma_f64 v[26:27], v[8:9], v[12:13], -v[0:1]
	ds_read_b128 v[0:3], v32 offset:13312
	ds_read_b128 v[4:7], v30 offset:416
	v_mul_f64 v[8:9], v[8:9], v[14:15]
	v_fmac_f64_e32 v[8:9], v[10:11], v[12:13]
	v_add_f64 v[24:25], v[24:25], v[8:9]
	ds_read_b128 v[8:11], v32 offset:13824
	ds_read_b128 v[12:15], v30 offset:432
	;; [unrolled: 17-line block ×3, first 2 shown]
	v_add_f64 v[22:23], v[22:23], v[26:27]
	s_waitcnt lgkmcnt(0)
	v_mul_f64 v[26:27], v[2:3], v[6:7]
	v_fma_f64 v[26:27], v[0:1], v[4:5], -v[26:27]
	v_mul_f64 v[0:1], v[0:1], v[6:7]
	v_fmac_f64_e32 v[0:1], v[2:3], v[4:5]
	v_add_f64 v[24:25], v[24:25], v[0:1]
	v_mul_f64 v[0:1], v[10:11], v[14:15]
	v_add_f64 v[22:23], v[22:23], v[26:27]
	v_fma_f64 v[26:27], v[8:9], v[12:13], -v[0:1]
	v_mul_f64 v[8:9], v[8:9], v[14:15]
	ds_read_b128 v[0:3], v32 offset:15360
	ds_read_b128 v[4:7], v30 offset:480
	v_fmac_f64_e32 v[8:9], v[10:11], v[12:13]
	v_add_f64 v[24:25], v[24:25], v[8:9]
	ds_read_b128 v[8:11], v32 offset:15872
	ds_read_b128 v[12:15], v30 offset:496
	v_add_f64 v[22:23], v[22:23], v[26:27]
	s_waitcnt lgkmcnt(0)
	v_mul_f64 v[26:27], v[2:3], v[6:7]
	v_fma_f64 v[26:27], v[0:1], v[4:5], -v[26:27]
	v_mul_f64 v[0:1], v[0:1], v[6:7]
	v_fmac_f64_e32 v[0:1], v[2:3], v[4:5]
	v_mul_f64 v[6:7], v[8:9], v[14:15]
	v_add_f64 v[0:1], v[24:25], v[0:1]
	v_mul_f64 v[4:5], v[10:11], v[14:15]
	v_fmac_f64_e32 v[6:7], v[10:11], v[12:13]
	v_add_f64 v[2:3], v[22:23], v[26:27]
	v_fma_f64 v[4:5], v[8:9], v[12:13], -v[4:5]
	v_add_f64 v[0:1], v[0:1], v[6:7]
	v_add_f64 v[2:3], v[2:3], v[4:5]
	v_mul_f64 v[4:5], s[18:19], v[0:1]
	v_fma_f64 v[4:5], s[16:17], v[2:3], -v[4:5]
	v_mul_f64 v[2:3], s[18:19], v[2:3]
	v_fmac_f64_e32 v[2:3], s[16:17], v[0:1]
	s_waitcnt vmcnt(0)
	v_add_f64 v[0:1], v[36:37], v[4:5]
	v_add_f64 v[2:3], v[38:39], v[2:3]
	flat_store_dwordx4 v[20:21], v[0:3]
	s_branch .LBB52_6
.LBB52_13:
	s_endpgm
	.section	.rodata,"a",@progbits
	.p2align	6, 0x0
	.amdhsa_kernel _ZL24rocblas_symm_hemm_kernelILb0ELb1ELi32EPK19rocblas_complex_numIdEPKS3_PKPS1_EvbiiT2_T3_lllSA_lllT4_llli
		.amdhsa_group_segment_fixed_size 32768
		.amdhsa_private_segment_fixed_size 0
		.amdhsa_kernarg_size 384
		.amdhsa_user_sgpr_count 2
		.amdhsa_user_sgpr_dispatch_ptr 0
		.amdhsa_user_sgpr_queue_ptr 0
		.amdhsa_user_sgpr_kernarg_segment_ptr 1
		.amdhsa_user_sgpr_dispatch_id 0
		.amdhsa_user_sgpr_kernarg_preload_length 0
		.amdhsa_user_sgpr_kernarg_preload_offset 0
		.amdhsa_user_sgpr_private_segment_size 0
		.amdhsa_uses_dynamic_stack 0
		.amdhsa_enable_private_segment 0
		.amdhsa_system_sgpr_workgroup_id_x 1
		.amdhsa_system_sgpr_workgroup_id_y 1
		.amdhsa_system_sgpr_workgroup_id_z 1
		.amdhsa_system_sgpr_workgroup_info 0
		.amdhsa_system_vgpr_workitem_id 1
		.amdhsa_next_free_vgpr 40
		.amdhsa_next_free_sgpr 40
		.amdhsa_accum_offset 40
		.amdhsa_reserve_vcc 1
		.amdhsa_float_round_mode_32 0
		.amdhsa_float_round_mode_16_64 0
		.amdhsa_float_denorm_mode_32 3
		.amdhsa_float_denorm_mode_16_64 3
		.amdhsa_dx10_clamp 1
		.amdhsa_ieee_mode 1
		.amdhsa_fp16_overflow 0
		.amdhsa_tg_split 0
		.amdhsa_exception_fp_ieee_invalid_op 0
		.amdhsa_exception_fp_denorm_src 0
		.amdhsa_exception_fp_ieee_div_zero 0
		.amdhsa_exception_fp_ieee_overflow 0
		.amdhsa_exception_fp_ieee_underflow 0
		.amdhsa_exception_fp_ieee_inexact 0
		.amdhsa_exception_int_div_zero 0
	.end_amdhsa_kernel
	.section	.text._ZL24rocblas_symm_hemm_kernelILb0ELb1ELi32EPK19rocblas_complex_numIdEPKS3_PKPS1_EvbiiT2_T3_lllSA_lllT4_llli,"axG",@progbits,_ZL24rocblas_symm_hemm_kernelILb0ELb1ELi32EPK19rocblas_complex_numIdEPKS3_PKPS1_EvbiiT2_T3_lllSA_lllT4_llli,comdat
.Lfunc_end52:
	.size	_ZL24rocblas_symm_hemm_kernelILb0ELb1ELi32EPK19rocblas_complex_numIdEPKS3_PKPS1_EvbiiT2_T3_lllSA_lllT4_llli, .Lfunc_end52-_ZL24rocblas_symm_hemm_kernelILb0ELb1ELi32EPK19rocblas_complex_numIdEPKS3_PKPS1_EvbiiT2_T3_lllSA_lllT4_llli
                                        ; -- End function
	.set _ZL24rocblas_symm_hemm_kernelILb0ELb1ELi32EPK19rocblas_complex_numIdEPKS3_PKPS1_EvbiiT2_T3_lllSA_lllT4_llli.num_vgpr, 40
	.set _ZL24rocblas_symm_hemm_kernelILb0ELb1ELi32EPK19rocblas_complex_numIdEPKS3_PKPS1_EvbiiT2_T3_lllSA_lllT4_llli.num_agpr, 0
	.set _ZL24rocblas_symm_hemm_kernelILb0ELb1ELi32EPK19rocblas_complex_numIdEPKS3_PKPS1_EvbiiT2_T3_lllSA_lllT4_llli.numbered_sgpr, 40
	.set _ZL24rocblas_symm_hemm_kernelILb0ELb1ELi32EPK19rocblas_complex_numIdEPKS3_PKPS1_EvbiiT2_T3_lllSA_lllT4_llli.num_named_barrier, 0
	.set _ZL24rocblas_symm_hemm_kernelILb0ELb1ELi32EPK19rocblas_complex_numIdEPKS3_PKPS1_EvbiiT2_T3_lllSA_lllT4_llli.private_seg_size, 0
	.set _ZL24rocblas_symm_hemm_kernelILb0ELb1ELi32EPK19rocblas_complex_numIdEPKS3_PKPS1_EvbiiT2_T3_lllSA_lllT4_llli.uses_vcc, 1
	.set _ZL24rocblas_symm_hemm_kernelILb0ELb1ELi32EPK19rocblas_complex_numIdEPKS3_PKPS1_EvbiiT2_T3_lllSA_lllT4_llli.uses_flat_scratch, 0
	.set _ZL24rocblas_symm_hemm_kernelILb0ELb1ELi32EPK19rocblas_complex_numIdEPKS3_PKPS1_EvbiiT2_T3_lllSA_lllT4_llli.has_dyn_sized_stack, 0
	.set _ZL24rocblas_symm_hemm_kernelILb0ELb1ELi32EPK19rocblas_complex_numIdEPKS3_PKPS1_EvbiiT2_T3_lllSA_lllT4_llli.has_recursion, 0
	.set _ZL24rocblas_symm_hemm_kernelILb0ELb1ELi32EPK19rocblas_complex_numIdEPKS3_PKPS1_EvbiiT2_T3_lllSA_lllT4_llli.has_indirect_call, 0
	.section	.AMDGPU.csdata,"",@progbits
; Kernel info:
; codeLenInByte = 2820
; TotalNumSgprs: 46
; NumVgprs: 40
; NumAgprs: 0
; TotalNumVgprs: 40
; ScratchSize: 0
; MemoryBound: 1
; FloatMode: 240
; IeeeMode: 1
; LDSByteSize: 32768 bytes/workgroup (compile time only)
; SGPRBlocks: 5
; VGPRBlocks: 4
; NumSGPRsForWavesPerEU: 46
; NumVGPRsForWavesPerEU: 40
; AccumOffset: 40
; Occupancy: 8
; WaveLimiterHint : 1
; COMPUTE_PGM_RSRC2:SCRATCH_EN: 0
; COMPUTE_PGM_RSRC2:USER_SGPR: 2
; COMPUTE_PGM_RSRC2:TRAP_HANDLER: 0
; COMPUTE_PGM_RSRC2:TGID_X_EN: 1
; COMPUTE_PGM_RSRC2:TGID_Y_EN: 1
; COMPUTE_PGM_RSRC2:TGID_Z_EN: 1
; COMPUTE_PGM_RSRC2:TIDIG_COMP_CNT: 1
; COMPUTE_PGM_RSRC3_GFX90A:ACCUM_OFFSET: 9
; COMPUTE_PGM_RSRC3_GFX90A:TG_SPLIT: 0
	.section	.text._ZL25rocblas_symm_scale_kernelILi128ELi8E19rocblas_complex_numIdEPKPS1_EviiT1_T2_llli,"axG",@progbits,_ZL25rocblas_symm_scale_kernelILi128ELi8E19rocblas_complex_numIdEPKPS1_EviiT1_T2_llli,comdat
	.globl	_ZL25rocblas_symm_scale_kernelILi128ELi8E19rocblas_complex_numIdEPKPS1_EviiT1_T2_llli ; -- Begin function _ZL25rocblas_symm_scale_kernelILi128ELi8E19rocblas_complex_numIdEPKPS1_EviiT1_T2_llli
	.p2align	8
	.type	_ZL25rocblas_symm_scale_kernelILi128ELi8E19rocblas_complex_numIdEPKPS1_EviiT1_T2_llli,@function
_ZL25rocblas_symm_scale_kernelILi128ELi8E19rocblas_complex_numIdEPKPS1_EviiT1_T2_llli: ; @_ZL25rocblas_symm_scale_kernelILi128ELi8E19rocblas_complex_numIdEPKPS1_EviiT1_T2_llli
; %bb.0:
	s_load_dwordx8 s[8:15], s[0:1], 0x8
	s_waitcnt lgkmcnt(0)
	v_cmp_eq_f64_e64 s[6:7], s[8:9], 1.0
	v_cmp_eq_f64_e64 s[16:17], s[10:11], 0
	s_and_b64 s[6:7], s[6:7], s[16:17]
	s_and_b64 vcc, exec, s[6:7]
	s_cbranch_vccnz .LBB53_6
; %bb.1:
	s_load_dwordx2 s[16:17], s[0:1], 0x0
	v_and_b32_e32 v1, 0x3ff, v0
	v_bfe_u32 v0, v0, 10, 10
	v_lshl_add_u32 v2, s2, 7, v1
	v_lshl_add_u32 v4, s3, 3, v0
	v_mov_b32_e32 v5, 0
	s_waitcnt lgkmcnt(0)
	s_ashr_i32 s7, s17, 31
	s_mov_b32 s6, s17
	v_cmp_gt_u32_e32 vcc, s16, v2
	v_cmp_gt_i64_e64 s[2:3], s[6:7], v[4:5]
	s_and_b64 s[2:3], vcc, s[2:3]
	s_and_saveexec_b64 s[16:17], s[2:3]
	s_cbranch_execz .LBB53_6
; %bb.2:
	s_mov_b32 s5, 0
	s_lshl_b64 s[2:3], s[4:5], 3
	s_add_u32 s2, s12, s2
	s_addc_u32 s3, s13, s3
	s_load_dwordx2 s[12:13], s[2:3], 0x0
	s_load_dwordx2 s[16:17], s[0:1], 0x28
	s_load_dword s4, s[0:1], 0x44
	s_lshl_b64 s[14:15], s[14:15], 4
	v_mov_b32_e32 v3, v5
	v_cmp_neq_f64_e64 s[0:1], s[8:9], 0
	s_waitcnt lgkmcnt(0)
	v_mad_u64_u32 v[0:1], s[20:21], s16, v4, 0
	v_mov_b32_e32 v6, v1
	v_mad_u64_u32 v[6:7], s[20:21], s17, v4, v[6:7]
	v_mov_b32_e32 v1, v6
	v_lshl_add_u64 v[0:1], v[0:1], 4, s[14:15]
	v_cmp_neq_f64_e64 s[18:19], s[10:11], 0
	s_lshl_b32 s4, s4, 3
	v_lshl_add_u64 v[0:1], v[2:3], 4, v[0:1]
	v_lshl_add_u64 v[6:7], s[12:13], 0, v[0:1]
	s_mul_i32 s12, s17, s4
	s_mul_hi_u32 s13, s16, s4
	s_or_b64 s[0:1], s[0:1], s[18:19]
	s_add_i32 s13, s13, s12
	s_mul_i32 s12, s16, s4
	v_cndmask_b32_e64 v0, 0, 1, s[0:1]
	s_mov_b64 s[2:3], 0
	s_lshl_b64 s[12:13], s[12:13], 4
	v_cmp_ne_u32_e64 s[0:1], 1, v0
	s_branch .LBB53_4
.LBB53_3:                               ;   in Loop: Header=BB53_4 Depth=1
	v_lshl_add_u64 v[4:5], v[4:5], 0, s[4:5]
	v_cmp_le_i64_e32 vcc, s[6:7], v[4:5]
	flat_store_dwordx4 v[6:7], v[0:3]
	s_or_b64 s[2:3], vcc, s[2:3]
	v_lshl_add_u64 v[6:7], v[6:7], 0, s[12:13]
	s_andn2_b64 exec, exec, s[2:3]
	s_cbranch_execz .LBB53_6
.LBB53_4:                               ; =>This Inner Loop Header: Depth=1
	v_mov_b64_e32 v[2:3], 0
	s_and_b64 vcc, exec, s[0:1]
	v_mov_b64_e32 v[0:1], 0
	s_cbranch_vccnz .LBB53_3
; %bb.5:                                ;   in Loop: Header=BB53_4 Depth=1
	flat_load_dwordx4 v[8:11], v[6:7]
	s_waitcnt vmcnt(0) lgkmcnt(0)
	v_mul_f64 v[0:1], s[10:11], v[10:11]
	v_mul_f64 v[2:3], s[8:9], v[10:11]
	v_fma_f64 v[0:1], s[8:9], v[8:9], -v[0:1]
	v_fmac_f64_e32 v[2:3], s[10:11], v[8:9]
	s_branch .LBB53_3
.LBB53_6:
	s_endpgm
	.section	.rodata,"a",@progbits
	.p2align	6, 0x0
	.amdhsa_kernel _ZL25rocblas_symm_scale_kernelILi128ELi8E19rocblas_complex_numIdEPKPS1_EviiT1_T2_llli
		.amdhsa_group_segment_fixed_size 0
		.amdhsa_private_segment_fixed_size 0
		.amdhsa_kernarg_size 320
		.amdhsa_user_sgpr_count 2
		.amdhsa_user_sgpr_dispatch_ptr 0
		.amdhsa_user_sgpr_queue_ptr 0
		.amdhsa_user_sgpr_kernarg_segment_ptr 1
		.amdhsa_user_sgpr_dispatch_id 0
		.amdhsa_user_sgpr_kernarg_preload_length 0
		.amdhsa_user_sgpr_kernarg_preload_offset 0
		.amdhsa_user_sgpr_private_segment_size 0
		.amdhsa_uses_dynamic_stack 0
		.amdhsa_enable_private_segment 0
		.amdhsa_system_sgpr_workgroup_id_x 1
		.amdhsa_system_sgpr_workgroup_id_y 1
		.amdhsa_system_sgpr_workgroup_id_z 1
		.amdhsa_system_sgpr_workgroup_info 0
		.amdhsa_system_vgpr_workitem_id 1
		.amdhsa_next_free_vgpr 12
		.amdhsa_next_free_sgpr 22
		.amdhsa_accum_offset 12
		.amdhsa_reserve_vcc 1
		.amdhsa_float_round_mode_32 0
		.amdhsa_float_round_mode_16_64 0
		.amdhsa_float_denorm_mode_32 3
		.amdhsa_float_denorm_mode_16_64 3
		.amdhsa_dx10_clamp 1
		.amdhsa_ieee_mode 1
		.amdhsa_fp16_overflow 0
		.amdhsa_tg_split 0
		.amdhsa_exception_fp_ieee_invalid_op 0
		.amdhsa_exception_fp_denorm_src 0
		.amdhsa_exception_fp_ieee_div_zero 0
		.amdhsa_exception_fp_ieee_overflow 0
		.amdhsa_exception_fp_ieee_underflow 0
		.amdhsa_exception_fp_ieee_inexact 0
		.amdhsa_exception_int_div_zero 0
	.end_amdhsa_kernel
	.section	.text._ZL25rocblas_symm_scale_kernelILi128ELi8E19rocblas_complex_numIdEPKPS1_EviiT1_T2_llli,"axG",@progbits,_ZL25rocblas_symm_scale_kernelILi128ELi8E19rocblas_complex_numIdEPKPS1_EviiT1_T2_llli,comdat
.Lfunc_end53:
	.size	_ZL25rocblas_symm_scale_kernelILi128ELi8E19rocblas_complex_numIdEPKPS1_EviiT1_T2_llli, .Lfunc_end53-_ZL25rocblas_symm_scale_kernelILi128ELi8E19rocblas_complex_numIdEPKPS1_EviiT1_T2_llli
                                        ; -- End function
	.set _ZL25rocblas_symm_scale_kernelILi128ELi8E19rocblas_complex_numIdEPKPS1_EviiT1_T2_llli.num_vgpr, 12
	.set _ZL25rocblas_symm_scale_kernelILi128ELi8E19rocblas_complex_numIdEPKPS1_EviiT1_T2_llli.num_agpr, 0
	.set _ZL25rocblas_symm_scale_kernelILi128ELi8E19rocblas_complex_numIdEPKPS1_EviiT1_T2_llli.numbered_sgpr, 22
	.set _ZL25rocblas_symm_scale_kernelILi128ELi8E19rocblas_complex_numIdEPKPS1_EviiT1_T2_llli.num_named_barrier, 0
	.set _ZL25rocblas_symm_scale_kernelILi128ELi8E19rocblas_complex_numIdEPKPS1_EviiT1_T2_llli.private_seg_size, 0
	.set _ZL25rocblas_symm_scale_kernelILi128ELi8E19rocblas_complex_numIdEPKPS1_EviiT1_T2_llli.uses_vcc, 1
	.set _ZL25rocblas_symm_scale_kernelILi128ELi8E19rocblas_complex_numIdEPKPS1_EviiT1_T2_llli.uses_flat_scratch, 0
	.set _ZL25rocblas_symm_scale_kernelILi128ELi8E19rocblas_complex_numIdEPKPS1_EviiT1_T2_llli.has_dyn_sized_stack, 0
	.set _ZL25rocblas_symm_scale_kernelILi128ELi8E19rocblas_complex_numIdEPKPS1_EviiT1_T2_llli.has_recursion, 0
	.set _ZL25rocblas_symm_scale_kernelILi128ELi8E19rocblas_complex_numIdEPKPS1_EviiT1_T2_llli.has_indirect_call, 0
	.section	.AMDGPU.csdata,"",@progbits
; Kernel info:
; codeLenInByte = 392
; TotalNumSgprs: 28
; NumVgprs: 12
; NumAgprs: 0
; TotalNumVgprs: 12
; ScratchSize: 0
; MemoryBound: 0
; FloatMode: 240
; IeeeMode: 1
; LDSByteSize: 0 bytes/workgroup (compile time only)
; SGPRBlocks: 3
; VGPRBlocks: 1
; NumSGPRsForWavesPerEU: 28
; NumVGPRsForWavesPerEU: 12
; AccumOffset: 12
; Occupancy: 8
; WaveLimiterHint : 0
; COMPUTE_PGM_RSRC2:SCRATCH_EN: 0
; COMPUTE_PGM_RSRC2:USER_SGPR: 2
; COMPUTE_PGM_RSRC2:TRAP_HANDLER: 0
; COMPUTE_PGM_RSRC2:TGID_X_EN: 1
; COMPUTE_PGM_RSRC2:TGID_Y_EN: 1
; COMPUTE_PGM_RSRC2:TGID_Z_EN: 1
; COMPUTE_PGM_RSRC2:TIDIG_COMP_CNT: 1
; COMPUTE_PGM_RSRC3_GFX90A:ACCUM_OFFSET: 2
; COMPUTE_PGM_RSRC3_GFX90A:TG_SPLIT: 0
	.section	.text._ZL24rocblas_symm_hemm_kernelILb0ELb0ELi32E19rocblas_complex_numIdEPKPKS1_PKPS1_EvbiiT2_T3_lllSA_lllT4_llli,"axG",@progbits,_ZL24rocblas_symm_hemm_kernelILb0ELb0ELi32E19rocblas_complex_numIdEPKPKS1_PKPS1_EvbiiT2_T3_lllSA_lllT4_llli,comdat
	.globl	_ZL24rocblas_symm_hemm_kernelILb0ELb0ELi32E19rocblas_complex_numIdEPKPKS1_PKPS1_EvbiiT2_T3_lllSA_lllT4_llli ; -- Begin function _ZL24rocblas_symm_hemm_kernelILb0ELb0ELi32E19rocblas_complex_numIdEPKPKS1_PKPS1_EvbiiT2_T3_lllSA_lllT4_llli
	.p2align	8
	.type	_ZL24rocblas_symm_hemm_kernelILb0ELb0ELi32E19rocblas_complex_numIdEPKPKS1_PKPS1_EvbiiT2_T3_lllSA_lllT4_llli,@function
_ZL24rocblas_symm_hemm_kernelILb0ELb0ELi32E19rocblas_complex_numIdEPKPKS1_PKPS1_EvbiiT2_T3_lllSA_lllT4_llli: ; @_ZL24rocblas_symm_hemm_kernelILb0ELb0ELi32E19rocblas_complex_numIdEPKPKS1_PKPS1_EvbiiT2_T3_lllSA_lllT4_llli
; %bb.0:
	s_load_dwordx8 s[12:19], s[0:1], 0x10
	s_waitcnt lgkmcnt(0)
	v_cmp_eq_f64_e64 s[6:7], s[12:13], 0
	v_cmp_eq_f64_e64 s[8:9], s[14:15], 0
	s_and_b64 s[6:7], s[6:7], s[8:9]
	s_and_b64 vcc, exec, s[6:7]
	s_cbranch_vccnz .LBB54_13
; %bb.1:
	s_load_dwordx4 s[20:23], s[0:1], 0x0
	s_waitcnt lgkmcnt(0)
	s_add_i32 s5, s22, -1
	s_ashr_i32 s6, s5, 31
	s_lshr_b32 s6, s6, 27
	s_add_i32 s5, s5, s6
	s_ashr_i32 s23, s5, 5
	s_cmp_gt_i32 s3, s23
	s_cbranch_scc1 .LBB54_13
; %bb.2:
	s_mov_b32 s5, 0
	s_lshl_b64 s[8:9], s[4:5], 3
	s_add_u32 s16, s16, s8
	s_addc_u32 s17, s17, s9
	s_load_dwordx2 s[24:25], s[16:17], 0x0
	s_load_dwordx4 s[4:7], s[0:1], 0x40
	s_load_dwordx2 s[10:11], s[0:1], 0x30
	s_lshl_b64 s[16:17], s[18:19], 4
	v_and_b32_e32 v30, 0x3ff, v0
	s_waitcnt lgkmcnt(0)
	s_add_u32 s16, s24, s16
	s_addc_u32 s17, s25, s17
	s_add_u32 s4, s4, s8
	s_addc_u32 s5, s5, s9
	s_load_dwordx2 s[24:25], s[4:5], 0x0
	s_load_dwordx2 s[18:19], s[0:1], 0x50
	s_load_dwordx4 s[28:31], s[0:1], 0x60
	s_lshl_b64 s[4:5], s[6:7], 4
	v_lshl_add_u32 v16, s2, 5, v30
	s_waitcnt lgkmcnt(0)
	s_add_u32 s24, s24, s4
	s_addc_u32 s25, s25, s5
	s_add_u32 s4, s28, s8
	s_addc_u32 s5, s29, s9
	s_load_dwordx2 s[4:5], s[4:5], 0x0
	s_bitcmp1_b32 s20, 0
	s_cselect_b64 s[6:7], -1, 0
	s_lshl_b64 s[8:9], s[30:31], 4
	s_load_dwordx2 s[26:27], s[0:1], 0x70
	s_load_dword s2, s[0:1], 0x8c
	s_waitcnt lgkmcnt(0)
	s_add_u32 s4, s4, s8
	s_addc_u32 s5, s5, s9
	v_bfe_u32 v31, v0, 10, 10
	s_cmp_gt_i32 s21, 0
	v_lshlrev_b32_e32 v32, 9, v30
	v_lshlrev_b32_e32 v0, 4, v31
	s_cselect_b64 s[0:1], -1, 0
	v_add_u32_e32 v33, v32, v0
	v_or_b32_e32 v34, 0x4000, v0
	v_ashrrev_i32_e32 v17, 31, v16
	v_cndmask_b32_e64 v0, 0, 1, s[0:1]
	v_add_u32_e32 v35, v34, v32
	v_cmp_gt_i32_e64 s[8:9], s21, v16
	v_lshl_add_u64 v[18:19], v[16:17], 4, s[4:5]
	v_cmp_ne_u32_e64 s[4:5], 1, v0
	s_branch .LBB54_4
.LBB54_3:                               ;   in Loop: Header=BB54_4 Depth=1
	s_add_i32 s3, s3, s2
	s_cmp_gt_i32 s3, s23
	s_cbranch_scc1 .LBB54_13
.LBB54_4:                               ; =>This Loop Header: Depth=1
                                        ;     Child Loop BB54_7 Depth 2
	s_and_b64 vcc, exec, s[4:5]
	s_cbranch_vccnz .LBB54_3
; %bb.5:                                ;   in Loop: Header=BB54_4 Depth=1
	v_lshl_add_u32 v2, s3, 5, v31
	v_ashrrev_i32_e32 v3, 31, v2
	v_mul_lo_u32 v4, s18, v3
	v_mul_lo_u32 v5, s19, v2
	v_mad_u64_u32 v[0:1], s[0:1], s18, v2, 0
	v_add3_u32 v1, v1, v4, v5
	v_lshl_add_u64 v[20:21], v[0:1], 4, s[24:25]
	v_mul_lo_u32 v3, s26, v3
	v_mul_lo_u32 v4, s27, v2
	v_mad_u64_u32 v[0:1], s[0:1], s26, v2, 0
	v_cmp_gt_i32_e32 vcc, s22, v2
	v_add3_u32 v1, v1, v3, v4
	s_and_b64 s[28:29], s[8:9], vcc
	v_lshl_add_u64 v[22:23], v[0:1], 4, v[18:19]
	s_mov_b32 s20, 0
	s_branch .LBB54_7
.LBB54_6:                               ;   in Loop: Header=BB54_7 Depth=2
	s_or_b64 exec, exec, s[0:1]
	s_add_i32 s20, s20, 32
	s_cmp_ge_i32 s20, s21
	s_waitcnt lgkmcnt(0)
	s_barrier
	s_cbranch_scc1 .LBB54_3
.LBB54_7:                               ;   Parent Loop BB54_4 Depth=1
                                        ; =>  This Inner Loop Header: Depth=2
	v_add_u32_e32 v0, s20, v31
	v_cndmask_b32_e64 v1, v0, v16, s[6:7]
	v_cndmask_b32_e64 v2, v16, v0, s[6:7]
	v_cmp_gt_i32_e64 s[0:1], v1, v2
	v_mov_b64_e32 v[2:3], 0
	v_mov_b64_e32 v[4:5], 0
	v_cndmask_b32_e64 v6, v16, v0, s[0:1]
	v_cndmask_b32_e64 v7, v0, v16, s[0:1]
	v_max_i32_e32 v0, v6, v7
	v_cmp_gt_i32_e64 s[0:1], s21, v0
	v_mov_b64_e32 v[0:1], 0
	s_and_saveexec_b64 s[30:31], s[0:1]
	s_cbranch_execz .LBB54_9
; %bb.8:                                ;   in Loop: Header=BB54_7 Depth=2
	v_ashrrev_i32_e32 v2, 31, v7
	v_mul_lo_u32 v4, s11, v7
	v_mul_lo_u32 v5, s10, v2
	v_mad_u64_u32 v[2:3], s[0:1], s10, v7, 0
	v_add3_u32 v3, v3, v5, v4
	v_ashrrev_i32_e32 v7, 31, v6
	v_lshl_add_u64 v[2:3], v[2:3], 4, s[16:17]
	v_lshl_add_u64 v[2:3], v[6:7], 4, v[2:3]
	flat_load_dwordx4 v[2:5], v[2:3]
.LBB54_9:                               ;   in Loop: Header=BB54_7 Depth=2
	s_or_b64 exec, exec, s[30:31]
	s_waitcnt vmcnt(0) lgkmcnt(0)
	ds_write_b128 v33, v[2:5]
	v_add_u32_e32 v4, s20, v30
	v_cmp_gt_i32_e64 s[0:1], s21, v4
	s_and_b64 s[30:31], s[0:1], vcc
	v_mov_b64_e32 v[2:3], 0
	s_and_saveexec_b64 s[0:1], s[30:31]
	s_cbranch_execz .LBB54_11
; %bb.10:                               ;   in Loop: Header=BB54_7 Depth=2
	v_ashrrev_i32_e32 v5, 31, v4
	v_lshl_add_u64 v[0:1], v[4:5], 4, v[20:21]
	flat_load_dwordx4 v[0:3], v[0:1]
.LBB54_11:                              ;   in Loop: Header=BB54_7 Depth=2
	s_or_b64 exec, exec, s[0:1]
	s_waitcnt vmcnt(0) lgkmcnt(0)
	ds_write_b128 v35, v[0:3]
	s_waitcnt lgkmcnt(0)
	s_barrier
	s_and_saveexec_b64 s[0:1], s[28:29]
	s_cbranch_execz .LBB54_6
; %bb.12:                               ;   in Loop: Header=BB54_7 Depth=2
	ds_read_b128 v[0:3], v34
	ds_read_b128 v[4:7], v32
	ds_read_b128 v[8:11], v32 offset:16
	ds_read_b128 v[12:15], v32 offset:32
	;; [unrolled: 1-line block ×4, first 2 shown]
	s_waitcnt lgkmcnt(4)
	v_mul_f64 v[28:29], v[2:3], v[6:7]
	v_fma_f64 v[28:29], v[0:1], v[4:5], -v[28:29]
	v_mul_f64 v[0:1], v[0:1], v[6:7]
	v_fmac_f64_e32 v[0:1], v[2:3], v[4:5]
	v_add_f64 v[6:7], v[0:1], 0
	s_waitcnt lgkmcnt(0)
	v_mul_f64 v[0:1], v[38:39], v[10:11]
	v_add_f64 v[4:5], v[28:29], 0
	v_fma_f64 v[28:29], v[36:37], v[8:9], -v[0:1]
	ds_read_b128 v[0:3], v34 offset:1024
	v_mul_f64 v[10:11], v[36:37], v[10:11]
	v_fmac_f64_e32 v[10:11], v[38:39], v[8:9]
	v_add_f64 v[8:9], v[4:5], v[28:29]
	v_add_f64 v[10:11], v[6:7], v[10:11]
	ds_read_b128 v[4:7], v34 offset:1536
	s_waitcnt lgkmcnt(1)
	v_mul_f64 v[28:29], v[2:3], v[14:15]
	v_fma_f64 v[28:29], v[0:1], v[12:13], -v[28:29]
	v_mul_f64 v[0:1], v[0:1], v[14:15]
	v_fmac_f64_e32 v[0:1], v[2:3], v[12:13]
	v_add_f64 v[10:11], v[10:11], v[0:1]
	s_waitcnt lgkmcnt(0)
	v_mul_f64 v[0:1], v[6:7], v[26:27]
	v_mul_f64 v[14:15], v[4:5], v[26:27]
	v_fma_f64 v[12:13], v[4:5], v[24:25], -v[0:1]
	v_fmac_f64_e32 v[14:15], v[6:7], v[24:25]
	ds_read_b128 v[0:3], v34 offset:2048
	ds_read_b128 v[4:7], v32 offset:64
	v_add_f64 v[8:9], v[8:9], v[28:29]
	v_add_f64 v[24:25], v[8:9], v[12:13]
	;; [unrolled: 1-line block ×3, first 2 shown]
	ds_read_b128 v[8:11], v34 offset:2560
	ds_read_b128 v[12:15], v32 offset:80
	s_waitcnt lgkmcnt(2)
	v_mul_f64 v[28:29], v[2:3], v[6:7]
	v_fma_f64 v[28:29], v[0:1], v[4:5], -v[28:29]
	v_mul_f64 v[0:1], v[0:1], v[6:7]
	v_fmac_f64_e32 v[0:1], v[2:3], v[4:5]
	v_add_f64 v[26:27], v[26:27], v[0:1]
	s_waitcnt lgkmcnt(0)
	v_mul_f64 v[0:1], v[10:11], v[14:15]
	v_add_f64 v[24:25], v[24:25], v[28:29]
	v_fma_f64 v[28:29], v[8:9], v[12:13], -v[0:1]
	ds_read_b128 v[0:3], v34 offset:3072
	ds_read_b128 v[4:7], v32 offset:96
	v_mul_f64 v[8:9], v[8:9], v[14:15]
	v_fmac_f64_e32 v[8:9], v[10:11], v[12:13]
	v_add_f64 v[26:27], v[26:27], v[8:9]
	ds_read_b128 v[8:11], v34 offset:3584
	ds_read_b128 v[12:15], v32 offset:112
	v_add_f64 v[24:25], v[24:25], v[28:29]
	s_waitcnt lgkmcnt(2)
	v_mul_f64 v[28:29], v[2:3], v[6:7]
	v_fma_f64 v[28:29], v[0:1], v[4:5], -v[28:29]
	v_mul_f64 v[0:1], v[0:1], v[6:7]
	v_fmac_f64_e32 v[0:1], v[2:3], v[4:5]
	v_add_f64 v[26:27], v[26:27], v[0:1]
	s_waitcnt lgkmcnt(0)
	v_mul_f64 v[0:1], v[10:11], v[14:15]
	v_add_f64 v[24:25], v[24:25], v[28:29]
	v_fma_f64 v[28:29], v[8:9], v[12:13], -v[0:1]
	ds_read_b128 v[0:3], v34 offset:4096
	ds_read_b128 v[4:7], v32 offset:128
	v_mul_f64 v[8:9], v[8:9], v[14:15]
	v_fmac_f64_e32 v[8:9], v[10:11], v[12:13]
	v_add_f64 v[26:27], v[26:27], v[8:9]
	ds_read_b128 v[8:11], v34 offset:4608
	ds_read_b128 v[12:15], v32 offset:144
	v_add_f64 v[24:25], v[24:25], v[28:29]
	;; [unrolled: 18-line block ×8, first 2 shown]
	s_waitcnt lgkmcnt(2)
	v_mul_f64 v[28:29], v[2:3], v[6:7]
	v_fma_f64 v[28:29], v[0:1], v[4:5], -v[28:29]
	v_mul_f64 v[0:1], v[0:1], v[6:7]
	v_fmac_f64_e32 v[0:1], v[2:3], v[4:5]
	v_add_f64 v[26:27], v[26:27], v[0:1]
	s_waitcnt lgkmcnt(0)
	v_mul_f64 v[0:1], v[10:11], v[14:15]
	v_add_f64 v[24:25], v[24:25], v[28:29]
	v_fma_f64 v[28:29], v[8:9], v[12:13], -v[0:1]
	v_mul_f64 v[8:9], v[8:9], v[14:15]
	v_fmac_f64_e32 v[8:9], v[10:11], v[12:13]
	ds_read_b128 v[0:3], v34 offset:11264
	ds_read_b128 v[4:7], v32 offset:352
	v_add_f64 v[26:27], v[26:27], v[8:9]
	ds_read_b128 v[8:11], v34 offset:11776
	ds_read_b128 v[12:15], v32 offset:368
	flat_load_dwordx4 v[36:39], v[22:23]
	v_add_f64 v[24:25], v[24:25], v[28:29]
	s_waitcnt lgkmcnt(0)
	v_mul_f64 v[28:29], v[2:3], v[6:7]
	v_fma_f64 v[28:29], v[0:1], v[4:5], -v[28:29]
	v_mul_f64 v[0:1], v[0:1], v[6:7]
	v_fmac_f64_e32 v[0:1], v[2:3], v[4:5]
	v_add_f64 v[26:27], v[26:27], v[0:1]
	v_mul_f64 v[0:1], v[10:11], v[14:15]
	v_add_f64 v[24:25], v[24:25], v[28:29]
	v_fma_f64 v[28:29], v[8:9], v[12:13], -v[0:1]
	ds_read_b128 v[0:3], v34 offset:12288
	ds_read_b128 v[4:7], v32 offset:384
	v_mul_f64 v[8:9], v[8:9], v[14:15]
	v_fmac_f64_e32 v[8:9], v[10:11], v[12:13]
	v_add_f64 v[26:27], v[26:27], v[8:9]
	ds_read_b128 v[8:11], v34 offset:12800
	ds_read_b128 v[12:15], v32 offset:400
	v_add_f64 v[24:25], v[24:25], v[28:29]
	s_waitcnt lgkmcnt(0)
	v_mul_f64 v[28:29], v[2:3], v[6:7]
	v_fma_f64 v[28:29], v[0:1], v[4:5], -v[28:29]
	v_mul_f64 v[0:1], v[0:1], v[6:7]
	v_fmac_f64_e32 v[0:1], v[2:3], v[4:5]
	v_add_f64 v[26:27], v[26:27], v[0:1]
	v_mul_f64 v[0:1], v[10:11], v[14:15]
	v_add_f64 v[24:25], v[24:25], v[28:29]
	v_fma_f64 v[28:29], v[8:9], v[12:13], -v[0:1]
	ds_read_b128 v[0:3], v34 offset:13312
	ds_read_b128 v[4:7], v32 offset:416
	v_mul_f64 v[8:9], v[8:9], v[14:15]
	v_fmac_f64_e32 v[8:9], v[10:11], v[12:13]
	v_add_f64 v[26:27], v[26:27], v[8:9]
	ds_read_b128 v[8:11], v34 offset:13824
	ds_read_b128 v[12:15], v32 offset:432
	;; [unrolled: 17-line block ×3, first 2 shown]
	v_add_f64 v[24:25], v[24:25], v[28:29]
	s_waitcnt lgkmcnt(0)
	v_mul_f64 v[28:29], v[2:3], v[6:7]
	v_fma_f64 v[28:29], v[0:1], v[4:5], -v[28:29]
	v_mul_f64 v[0:1], v[0:1], v[6:7]
	v_fmac_f64_e32 v[0:1], v[2:3], v[4:5]
	v_add_f64 v[26:27], v[26:27], v[0:1]
	v_mul_f64 v[0:1], v[10:11], v[14:15]
	v_add_f64 v[24:25], v[24:25], v[28:29]
	v_fma_f64 v[28:29], v[8:9], v[12:13], -v[0:1]
	v_mul_f64 v[8:9], v[8:9], v[14:15]
	ds_read_b128 v[0:3], v34 offset:15360
	ds_read_b128 v[4:7], v32 offset:480
	v_fmac_f64_e32 v[8:9], v[10:11], v[12:13]
	v_add_f64 v[26:27], v[26:27], v[8:9]
	ds_read_b128 v[8:11], v34 offset:15872
	ds_read_b128 v[12:15], v32 offset:496
	v_add_f64 v[24:25], v[24:25], v[28:29]
	s_waitcnt lgkmcnt(0)
	v_mul_f64 v[28:29], v[2:3], v[6:7]
	v_fma_f64 v[28:29], v[0:1], v[4:5], -v[28:29]
	v_mul_f64 v[0:1], v[0:1], v[6:7]
	v_fmac_f64_e32 v[0:1], v[2:3], v[4:5]
	v_mul_f64 v[6:7], v[8:9], v[14:15]
	v_add_f64 v[0:1], v[26:27], v[0:1]
	v_mul_f64 v[4:5], v[10:11], v[14:15]
	v_fmac_f64_e32 v[6:7], v[10:11], v[12:13]
	v_add_f64 v[2:3], v[24:25], v[28:29]
	v_fma_f64 v[4:5], v[8:9], v[12:13], -v[4:5]
	v_add_f64 v[0:1], v[0:1], v[6:7]
	v_add_f64 v[2:3], v[2:3], v[4:5]
	v_mul_f64 v[4:5], s[14:15], v[0:1]
	v_fma_f64 v[4:5], s[12:13], v[2:3], -v[4:5]
	v_mul_f64 v[2:3], s[14:15], v[2:3]
	v_fmac_f64_e32 v[2:3], s[12:13], v[0:1]
	s_waitcnt vmcnt(0)
	v_add_f64 v[0:1], v[36:37], v[4:5]
	v_add_f64 v[2:3], v[38:39], v[2:3]
	flat_store_dwordx4 v[22:23], v[0:3]
	s_branch .LBB54_6
.LBB54_13:
	s_endpgm
	.section	.rodata,"a",@progbits
	.p2align	6, 0x0
	.amdhsa_kernel _ZL24rocblas_symm_hemm_kernelILb0ELb0ELi32E19rocblas_complex_numIdEPKPKS1_PKPS1_EvbiiT2_T3_lllSA_lllT4_llli
		.amdhsa_group_segment_fixed_size 32768
		.amdhsa_private_segment_fixed_size 0
		.amdhsa_kernarg_size 392
		.amdhsa_user_sgpr_count 2
		.amdhsa_user_sgpr_dispatch_ptr 0
		.amdhsa_user_sgpr_queue_ptr 0
		.amdhsa_user_sgpr_kernarg_segment_ptr 1
		.amdhsa_user_sgpr_dispatch_id 0
		.amdhsa_user_sgpr_kernarg_preload_length 0
		.amdhsa_user_sgpr_kernarg_preload_offset 0
		.amdhsa_user_sgpr_private_segment_size 0
		.amdhsa_uses_dynamic_stack 0
		.amdhsa_enable_private_segment 0
		.amdhsa_system_sgpr_workgroup_id_x 1
		.amdhsa_system_sgpr_workgroup_id_y 1
		.amdhsa_system_sgpr_workgroup_id_z 1
		.amdhsa_system_sgpr_workgroup_info 0
		.amdhsa_system_vgpr_workitem_id 1
		.amdhsa_next_free_vgpr 40
		.amdhsa_next_free_sgpr 32
		.amdhsa_accum_offset 40
		.amdhsa_reserve_vcc 1
		.amdhsa_float_round_mode_32 0
		.amdhsa_float_round_mode_16_64 0
		.amdhsa_float_denorm_mode_32 3
		.amdhsa_float_denorm_mode_16_64 3
		.amdhsa_dx10_clamp 1
		.amdhsa_ieee_mode 1
		.amdhsa_fp16_overflow 0
		.amdhsa_tg_split 0
		.amdhsa_exception_fp_ieee_invalid_op 0
		.amdhsa_exception_fp_denorm_src 0
		.amdhsa_exception_fp_ieee_div_zero 0
		.amdhsa_exception_fp_ieee_overflow 0
		.amdhsa_exception_fp_ieee_underflow 0
		.amdhsa_exception_fp_ieee_inexact 0
		.amdhsa_exception_int_div_zero 0
	.end_amdhsa_kernel
	.section	.text._ZL24rocblas_symm_hemm_kernelILb0ELb0ELi32E19rocblas_complex_numIdEPKPKS1_PKPS1_EvbiiT2_T3_lllSA_lllT4_llli,"axG",@progbits,_ZL24rocblas_symm_hemm_kernelILb0ELb0ELi32E19rocblas_complex_numIdEPKPKS1_PKPS1_EvbiiT2_T3_lllSA_lllT4_llli,comdat
.Lfunc_end54:
	.size	_ZL24rocblas_symm_hemm_kernelILb0ELb0ELi32E19rocblas_complex_numIdEPKPKS1_PKPS1_EvbiiT2_T3_lllSA_lllT4_llli, .Lfunc_end54-_ZL24rocblas_symm_hemm_kernelILb0ELb0ELi32E19rocblas_complex_numIdEPKPKS1_PKPS1_EvbiiT2_T3_lllSA_lllT4_llli
                                        ; -- End function
	.set _ZL24rocblas_symm_hemm_kernelILb0ELb0ELi32E19rocblas_complex_numIdEPKPKS1_PKPS1_EvbiiT2_T3_lllSA_lllT4_llli.num_vgpr, 40
	.set _ZL24rocblas_symm_hemm_kernelILb0ELb0ELi32E19rocblas_complex_numIdEPKPKS1_PKPS1_EvbiiT2_T3_lllSA_lllT4_llli.num_agpr, 0
	.set _ZL24rocblas_symm_hemm_kernelILb0ELb0ELi32E19rocblas_complex_numIdEPKPKS1_PKPS1_EvbiiT2_T3_lllSA_lllT4_llli.numbered_sgpr, 32
	.set _ZL24rocblas_symm_hemm_kernelILb0ELb0ELi32E19rocblas_complex_numIdEPKPKS1_PKPS1_EvbiiT2_T3_lllSA_lllT4_llli.num_named_barrier, 0
	.set _ZL24rocblas_symm_hemm_kernelILb0ELb0ELi32E19rocblas_complex_numIdEPKPKS1_PKPS1_EvbiiT2_T3_lllSA_lllT4_llli.private_seg_size, 0
	.set _ZL24rocblas_symm_hemm_kernelILb0ELb0ELi32E19rocblas_complex_numIdEPKPKS1_PKPS1_EvbiiT2_T3_lllSA_lllT4_llli.uses_vcc, 1
	.set _ZL24rocblas_symm_hemm_kernelILb0ELb0ELi32E19rocblas_complex_numIdEPKPKS1_PKPS1_EvbiiT2_T3_lllSA_lllT4_llli.uses_flat_scratch, 0
	.set _ZL24rocblas_symm_hemm_kernelILb0ELb0ELi32E19rocblas_complex_numIdEPKPKS1_PKPS1_EvbiiT2_T3_lllSA_lllT4_llli.has_dyn_sized_stack, 0
	.set _ZL24rocblas_symm_hemm_kernelILb0ELb0ELi32E19rocblas_complex_numIdEPKPKS1_PKPS1_EvbiiT2_T3_lllSA_lllT4_llli.has_recursion, 0
	.set _ZL24rocblas_symm_hemm_kernelILb0ELb0ELi32E19rocblas_complex_numIdEPKPKS1_PKPS1_EvbiiT2_T3_lllSA_lllT4_llli.has_indirect_call, 0
	.section	.AMDGPU.csdata,"",@progbits
; Kernel info:
; codeLenInByte = 2824
; TotalNumSgprs: 38
; NumVgprs: 40
; NumAgprs: 0
; TotalNumVgprs: 40
; ScratchSize: 0
; MemoryBound: 1
; FloatMode: 240
; IeeeMode: 1
; LDSByteSize: 32768 bytes/workgroup (compile time only)
; SGPRBlocks: 4
; VGPRBlocks: 4
; NumSGPRsForWavesPerEU: 38
; NumVGPRsForWavesPerEU: 40
; AccumOffset: 40
; Occupancy: 8
; WaveLimiterHint : 1
; COMPUTE_PGM_RSRC2:SCRATCH_EN: 0
; COMPUTE_PGM_RSRC2:USER_SGPR: 2
; COMPUTE_PGM_RSRC2:TRAP_HANDLER: 0
; COMPUTE_PGM_RSRC2:TGID_X_EN: 1
; COMPUTE_PGM_RSRC2:TGID_Y_EN: 1
; COMPUTE_PGM_RSRC2:TGID_Z_EN: 1
; COMPUTE_PGM_RSRC2:TIDIG_COMP_CNT: 1
; COMPUTE_PGM_RSRC3_GFX90A:ACCUM_OFFSET: 9
; COMPUTE_PGM_RSRC3_GFX90A:TG_SPLIT: 0
	.section	.text._ZL24rocblas_symm_hemm_kernelILb0ELb1ELi32E19rocblas_complex_numIdEPKPKS1_PKPS1_EvbiiT2_T3_lllSA_lllT4_llli,"axG",@progbits,_ZL24rocblas_symm_hemm_kernelILb0ELb1ELi32E19rocblas_complex_numIdEPKPKS1_PKPS1_EvbiiT2_T3_lllSA_lllT4_llli,comdat
	.globl	_ZL24rocblas_symm_hemm_kernelILb0ELb1ELi32E19rocblas_complex_numIdEPKPKS1_PKPS1_EvbiiT2_T3_lllSA_lllT4_llli ; -- Begin function _ZL24rocblas_symm_hemm_kernelILb0ELb1ELi32E19rocblas_complex_numIdEPKPKS1_PKPS1_EvbiiT2_T3_lllSA_lllT4_llli
	.p2align	8
	.type	_ZL24rocblas_symm_hemm_kernelILb0ELb1ELi32E19rocblas_complex_numIdEPKPKS1_PKPS1_EvbiiT2_T3_lllSA_lllT4_llli,@function
_ZL24rocblas_symm_hemm_kernelILb0ELb1ELi32E19rocblas_complex_numIdEPKPKS1_PKPS1_EvbiiT2_T3_lllSA_lllT4_llli: ; @_ZL24rocblas_symm_hemm_kernelILb0ELb1ELi32E19rocblas_complex_numIdEPKPKS1_PKPS1_EvbiiT2_T3_lllSA_lllT4_llli
; %bb.0:
	s_load_dwordx8 s[12:19], s[0:1], 0x10
	s_waitcnt lgkmcnt(0)
	v_cmp_eq_f64_e64 s[6:7], s[12:13], 0
	v_cmp_eq_f64_e64 s[8:9], s[14:15], 0
	s_and_b64 s[6:7], s[6:7], s[8:9]
	s_and_b64 vcc, exec, s[6:7]
	s_cbranch_vccnz .LBB55_13
; %bb.1:
	s_load_dwordx4 s[8:11], s[0:1], 0x0
	s_waitcnt lgkmcnt(0)
	s_add_i32 s5, s10, -1
	s_ashr_i32 s6, s5, 31
	s_lshr_b32 s6, s6, 27
	s_add_i32 s5, s5, s6
	s_ashr_i32 s11, s5, 5
	s_cmp_gt_i32 s3, s11
	s_cbranch_scc1 .LBB55_13
; %bb.2:
	s_mov_b32 s5, 0
	s_lshl_b64 s[4:5], s[4:5], 3
	s_add_u32 s6, s16, s4
	s_addc_u32 s7, s17, s5
	s_load_dwordx2 s[22:23], s[6:7], 0x0
	s_load_dwordx2 s[16:17], s[0:1], 0x30
	s_load_dwordx4 s[24:27], s[0:1], 0x40
	s_load_dwordx2 s[20:21], s[0:1], 0x50
	s_load_dwordx4 s[28:31], s[0:1], 0x60
	s_lshl_b64 s[6:7], s[18:19], 4
	s_waitcnt lgkmcnt(0)
	s_add_u32 s18, s22, s6
	s_addc_u32 s19, s23, s7
	s_add_u32 s6, s24, s4
	s_addc_u32 s7, s25, s5
	;; [unrolled: 2-line block ×3, first 2 shown]
	s_load_dwordx2 s[22:23], s[4:5], 0x0
	s_load_dwordx2 s[24:25], s[6:7], 0x0
	s_bitcmp1_b32 s8, 0
	s_cselect_b64 s[6:7], -1, 0
	s_lshl_b64 s[4:5], s[30:31], 4
	s_waitcnt lgkmcnt(0)
	s_add_u32 s4, s22, s4
	v_and_b32_e32 v28, 0x3ff, v0
	s_addc_u32 s5, s23, s5
	s_lshl_b64 s[22:23], s[26:27], 4
	v_lshl_add_u32 v2, s2, 5, v28
	s_add_u32 s22, s24, s22
	v_ashrrev_i32_e32 v3, 31, v2
	s_addc_u32 s23, s25, s23
	v_bfe_u32 v29, v0, 10, 10
	v_lshlrev_b64 v[0:1], 4, v[2:3]
	v_lshl_add_u64 v[16:17], s[22:23], 0, v[0:1]
	s_load_dwordx2 s[22:23], s[0:1], 0x70
	s_load_dword s2, s[0:1], 0x8c
	s_cmp_gt_i32 s10, 0
	v_cmp_gt_i32_e64 s[8:9], s9, v2
	v_lshlrev_b32_e32 v2, 4, v29
	s_cselect_b64 s[0:1], -1, 0
	v_lshlrev_b32_e32 v30, 9, v28
	v_or_b32_e32 v32, 0x4000, v2
	v_lshl_add_u64 v[18:19], s[4:5], 0, v[0:1]
	v_cndmask_b32_e64 v0, 0, 1, s[0:1]
	v_add_u32_e32 v31, v30, v2
	v_add_u32_e32 v33, v32, v30
	v_cmp_ne_u32_e64 s[4:5], 1, v0
	s_branch .LBB55_4
.LBB55_3:                               ;   in Loop: Header=BB55_4 Depth=1
	s_waitcnt lgkmcnt(0)
	s_add_i32 s3, s3, s2
	s_cmp_gt_i32 s3, s11
	s_cbranch_scc1 .LBB55_13
.LBB55_4:                               ; =>This Loop Header: Depth=1
                                        ;     Child Loop BB55_7 Depth 2
	s_and_b64 vcc, exec, s[4:5]
	s_cbranch_vccnz .LBB55_3
; %bb.5:                                ;   in Loop: Header=BB55_4 Depth=1
	v_lshl_add_u32 v34, s3, 5, v29
	v_ashrrev_i32_e32 v0, 31, v34
	s_waitcnt lgkmcnt(0)
	v_mul_lo_u32 v2, s22, v0
	v_mul_lo_u32 v3, s23, v34
	v_mad_u64_u32 v[0:1], s[24:25], s22, v34, 0
	v_cmp_gt_i32_e32 vcc, s10, v34
	v_add3_u32 v1, v1, v2, v3
	s_and_b64 s[0:1], s[8:9], vcc
	v_lshl_add_u64 v[20:21], v[0:1], 4, v[18:19]
	s_mov_b32 s26, 0
	s_branch .LBB55_7
.LBB55_6:                               ;   in Loop: Header=BB55_7 Depth=2
	s_or_b64 exec, exec, s[24:25]
	s_add_i32 s26, s26, 32
	s_cmp_ge_i32 s26, s10
	s_waitcnt lgkmcnt(0)
	s_barrier
	s_cbranch_scc1 .LBB55_3
.LBB55_7:                               ;   Parent Loop BB55_4 Depth=1
                                        ; =>  This Inner Loop Header: Depth=2
	v_add_u32_e32 v6, s26, v29
	v_cmp_gt_i32_e32 vcc, s10, v6
	s_and_b64 s[28:29], s[8:9], vcc
	v_mov_b64_e32 v[0:1], 0
	v_mov_b64_e32 v[2:3], 0
	v_mov_b64_e32 v[4:5], 0
	s_and_saveexec_b64 s[24:25], s[28:29]
	s_cbranch_execz .LBB55_9
; %bb.8:                                ;   in Loop: Header=BB55_7 Depth=2
	v_ashrrev_i32_e32 v2, 31, v6
	v_mul_lo_u32 v4, s21, v6
	v_mul_lo_u32 v5, s20, v2
	v_mad_u64_u32 v[2:3], s[28:29], s20, v6, 0
	v_add3_u32 v3, v3, v5, v4
	v_lshl_add_u64 v[2:3], v[2:3], 4, v[16:17]
	flat_load_dwordx4 v[2:5], v[2:3]
.LBB55_9:                               ;   in Loop: Header=BB55_7 Depth=2
	s_or_b64 exec, exec, s[24:25]
	s_waitcnt vmcnt(0) lgkmcnt(0)
	ds_write_b128 v31, v[2:5]
	v_add_u32_e32 v2, s26, v28
	v_cndmask_b32_e64 v3, v34, v2, s[6:7]
	v_cndmask_b32_e64 v4, v2, v34, s[6:7]
	v_cmp_gt_i32_e32 vcc, v3, v4
	s_nop 1
	v_cndmask_b32_e32 v4, v2, v34, vcc
	v_cndmask_b32_e32 v5, v34, v2, vcc
	v_max_i32_e32 v2, v4, v5
	v_cmp_gt_i32_e32 vcc, s10, v2
	v_mov_b64_e32 v[2:3], 0
	s_and_saveexec_b64 s[24:25], vcc
	s_cbranch_execz .LBB55_11
; %bb.10:                               ;   in Loop: Header=BB55_7 Depth=2
	v_ashrrev_i32_e32 v0, 31, v5
	v_mul_lo_u32 v2, s17, v5
	v_mul_lo_u32 v3, s16, v0
	v_mad_u64_u32 v[0:1], s[28:29], s16, v5, 0
	v_add3_u32 v1, v1, v3, v2
	v_ashrrev_i32_e32 v5, 31, v4
	v_lshl_add_u64 v[0:1], v[0:1], 4, s[18:19]
	v_lshl_add_u64 v[0:1], v[4:5], 4, v[0:1]
	flat_load_dwordx4 v[0:3], v[0:1]
.LBB55_11:                              ;   in Loop: Header=BB55_7 Depth=2
	s_or_b64 exec, exec, s[24:25]
	s_waitcnt vmcnt(0) lgkmcnt(0)
	ds_write_b128 v33, v[0:3]
	s_waitcnt lgkmcnt(0)
	s_barrier
	s_and_saveexec_b64 s[24:25], s[0:1]
	s_cbranch_execz .LBB55_6
; %bb.12:                               ;   in Loop: Header=BB55_7 Depth=2
	ds_read_b128 v[0:3], v32
	ds_read_b128 v[4:7], v30
	ds_read_b128 v[8:11], v30 offset:16
	ds_read_b128 v[12:15], v30 offset:32
	;; [unrolled: 1-line block ×4, first 2 shown]
	s_waitcnt lgkmcnt(4)
	v_mul_f64 v[26:27], v[2:3], v[6:7]
	v_fma_f64 v[26:27], v[0:1], v[4:5], -v[26:27]
	v_mul_f64 v[0:1], v[0:1], v[6:7]
	v_fmac_f64_e32 v[0:1], v[2:3], v[4:5]
	v_add_f64 v[6:7], v[0:1], 0
	s_waitcnt lgkmcnt(0)
	v_mul_f64 v[0:1], v[38:39], v[10:11]
	v_add_f64 v[4:5], v[26:27], 0
	v_fma_f64 v[26:27], v[36:37], v[8:9], -v[0:1]
	ds_read_b128 v[0:3], v32 offset:1024
	v_mul_f64 v[10:11], v[36:37], v[10:11]
	v_fmac_f64_e32 v[10:11], v[38:39], v[8:9]
	v_add_f64 v[8:9], v[4:5], v[26:27]
	v_add_f64 v[10:11], v[6:7], v[10:11]
	ds_read_b128 v[4:7], v32 offset:1536
	s_waitcnt lgkmcnt(1)
	v_mul_f64 v[26:27], v[2:3], v[14:15]
	v_fma_f64 v[26:27], v[0:1], v[12:13], -v[26:27]
	v_mul_f64 v[0:1], v[0:1], v[14:15]
	v_fmac_f64_e32 v[0:1], v[2:3], v[12:13]
	v_add_f64 v[10:11], v[10:11], v[0:1]
	s_waitcnt lgkmcnt(0)
	v_mul_f64 v[0:1], v[6:7], v[24:25]
	v_mul_f64 v[14:15], v[4:5], v[24:25]
	v_fma_f64 v[12:13], v[4:5], v[22:23], -v[0:1]
	v_fmac_f64_e32 v[14:15], v[6:7], v[22:23]
	ds_read_b128 v[0:3], v32 offset:2048
	ds_read_b128 v[4:7], v30 offset:64
	v_add_f64 v[8:9], v[8:9], v[26:27]
	v_add_f64 v[22:23], v[8:9], v[12:13]
	;; [unrolled: 1-line block ×3, first 2 shown]
	ds_read_b128 v[8:11], v32 offset:2560
	ds_read_b128 v[12:15], v30 offset:80
	s_waitcnt lgkmcnt(2)
	v_mul_f64 v[26:27], v[2:3], v[6:7]
	v_fma_f64 v[26:27], v[0:1], v[4:5], -v[26:27]
	v_mul_f64 v[0:1], v[0:1], v[6:7]
	v_fmac_f64_e32 v[0:1], v[2:3], v[4:5]
	v_add_f64 v[24:25], v[24:25], v[0:1]
	s_waitcnt lgkmcnt(0)
	v_mul_f64 v[0:1], v[10:11], v[14:15]
	v_add_f64 v[22:23], v[22:23], v[26:27]
	v_fma_f64 v[26:27], v[8:9], v[12:13], -v[0:1]
	ds_read_b128 v[0:3], v32 offset:3072
	ds_read_b128 v[4:7], v30 offset:96
	v_mul_f64 v[8:9], v[8:9], v[14:15]
	v_fmac_f64_e32 v[8:9], v[10:11], v[12:13]
	v_add_f64 v[24:25], v[24:25], v[8:9]
	ds_read_b128 v[8:11], v32 offset:3584
	ds_read_b128 v[12:15], v30 offset:112
	v_add_f64 v[22:23], v[22:23], v[26:27]
	s_waitcnt lgkmcnt(2)
	v_mul_f64 v[26:27], v[2:3], v[6:7]
	v_fma_f64 v[26:27], v[0:1], v[4:5], -v[26:27]
	v_mul_f64 v[0:1], v[0:1], v[6:7]
	v_fmac_f64_e32 v[0:1], v[2:3], v[4:5]
	v_add_f64 v[24:25], v[24:25], v[0:1]
	s_waitcnt lgkmcnt(0)
	v_mul_f64 v[0:1], v[10:11], v[14:15]
	v_add_f64 v[22:23], v[22:23], v[26:27]
	v_fma_f64 v[26:27], v[8:9], v[12:13], -v[0:1]
	ds_read_b128 v[0:3], v32 offset:4096
	ds_read_b128 v[4:7], v30 offset:128
	v_mul_f64 v[8:9], v[8:9], v[14:15]
	v_fmac_f64_e32 v[8:9], v[10:11], v[12:13]
	v_add_f64 v[24:25], v[24:25], v[8:9]
	ds_read_b128 v[8:11], v32 offset:4608
	ds_read_b128 v[12:15], v30 offset:144
	v_add_f64 v[22:23], v[22:23], v[26:27]
	;; [unrolled: 18-line block ×8, first 2 shown]
	s_waitcnt lgkmcnt(2)
	v_mul_f64 v[26:27], v[2:3], v[6:7]
	v_fma_f64 v[26:27], v[0:1], v[4:5], -v[26:27]
	v_mul_f64 v[0:1], v[0:1], v[6:7]
	v_fmac_f64_e32 v[0:1], v[2:3], v[4:5]
	v_add_f64 v[24:25], v[24:25], v[0:1]
	s_waitcnt lgkmcnt(0)
	v_mul_f64 v[0:1], v[10:11], v[14:15]
	v_add_f64 v[22:23], v[22:23], v[26:27]
	v_fma_f64 v[26:27], v[8:9], v[12:13], -v[0:1]
	v_mul_f64 v[8:9], v[8:9], v[14:15]
	v_fmac_f64_e32 v[8:9], v[10:11], v[12:13]
	ds_read_b128 v[0:3], v32 offset:11264
	ds_read_b128 v[4:7], v30 offset:352
	v_add_f64 v[24:25], v[24:25], v[8:9]
	ds_read_b128 v[8:11], v32 offset:11776
	ds_read_b128 v[12:15], v30 offset:368
	flat_load_dwordx4 v[36:39], v[20:21]
	v_add_f64 v[22:23], v[22:23], v[26:27]
	s_waitcnt lgkmcnt(0)
	v_mul_f64 v[26:27], v[2:3], v[6:7]
	v_fma_f64 v[26:27], v[0:1], v[4:5], -v[26:27]
	v_mul_f64 v[0:1], v[0:1], v[6:7]
	v_fmac_f64_e32 v[0:1], v[2:3], v[4:5]
	v_add_f64 v[24:25], v[24:25], v[0:1]
	v_mul_f64 v[0:1], v[10:11], v[14:15]
	v_add_f64 v[22:23], v[22:23], v[26:27]
	v_fma_f64 v[26:27], v[8:9], v[12:13], -v[0:1]
	ds_read_b128 v[0:3], v32 offset:12288
	ds_read_b128 v[4:7], v30 offset:384
	v_mul_f64 v[8:9], v[8:9], v[14:15]
	v_fmac_f64_e32 v[8:9], v[10:11], v[12:13]
	v_add_f64 v[24:25], v[24:25], v[8:9]
	ds_read_b128 v[8:11], v32 offset:12800
	ds_read_b128 v[12:15], v30 offset:400
	v_add_f64 v[22:23], v[22:23], v[26:27]
	s_waitcnt lgkmcnt(0)
	v_mul_f64 v[26:27], v[2:3], v[6:7]
	v_fma_f64 v[26:27], v[0:1], v[4:5], -v[26:27]
	v_mul_f64 v[0:1], v[0:1], v[6:7]
	v_fmac_f64_e32 v[0:1], v[2:3], v[4:5]
	v_add_f64 v[24:25], v[24:25], v[0:1]
	v_mul_f64 v[0:1], v[10:11], v[14:15]
	v_add_f64 v[22:23], v[22:23], v[26:27]
	v_fma_f64 v[26:27], v[8:9], v[12:13], -v[0:1]
	ds_read_b128 v[0:3], v32 offset:13312
	ds_read_b128 v[4:7], v30 offset:416
	v_mul_f64 v[8:9], v[8:9], v[14:15]
	v_fmac_f64_e32 v[8:9], v[10:11], v[12:13]
	v_add_f64 v[24:25], v[24:25], v[8:9]
	ds_read_b128 v[8:11], v32 offset:13824
	ds_read_b128 v[12:15], v30 offset:432
	;; [unrolled: 17-line block ×3, first 2 shown]
	v_add_f64 v[22:23], v[22:23], v[26:27]
	s_waitcnt lgkmcnt(0)
	v_mul_f64 v[26:27], v[2:3], v[6:7]
	v_fma_f64 v[26:27], v[0:1], v[4:5], -v[26:27]
	v_mul_f64 v[0:1], v[0:1], v[6:7]
	v_fmac_f64_e32 v[0:1], v[2:3], v[4:5]
	v_add_f64 v[24:25], v[24:25], v[0:1]
	v_mul_f64 v[0:1], v[10:11], v[14:15]
	v_add_f64 v[22:23], v[22:23], v[26:27]
	v_fma_f64 v[26:27], v[8:9], v[12:13], -v[0:1]
	v_mul_f64 v[8:9], v[8:9], v[14:15]
	ds_read_b128 v[0:3], v32 offset:15360
	ds_read_b128 v[4:7], v30 offset:480
	v_fmac_f64_e32 v[8:9], v[10:11], v[12:13]
	v_add_f64 v[24:25], v[24:25], v[8:9]
	ds_read_b128 v[8:11], v32 offset:15872
	ds_read_b128 v[12:15], v30 offset:496
	v_add_f64 v[22:23], v[22:23], v[26:27]
	s_waitcnt lgkmcnt(0)
	v_mul_f64 v[26:27], v[2:3], v[6:7]
	v_fma_f64 v[26:27], v[0:1], v[4:5], -v[26:27]
	v_mul_f64 v[0:1], v[0:1], v[6:7]
	v_fmac_f64_e32 v[0:1], v[2:3], v[4:5]
	v_mul_f64 v[6:7], v[8:9], v[14:15]
	v_add_f64 v[0:1], v[24:25], v[0:1]
	v_mul_f64 v[4:5], v[10:11], v[14:15]
	v_fmac_f64_e32 v[6:7], v[10:11], v[12:13]
	v_add_f64 v[2:3], v[22:23], v[26:27]
	v_fma_f64 v[4:5], v[8:9], v[12:13], -v[4:5]
	v_add_f64 v[0:1], v[0:1], v[6:7]
	v_add_f64 v[2:3], v[2:3], v[4:5]
	v_mul_f64 v[4:5], s[14:15], v[0:1]
	v_fma_f64 v[4:5], s[12:13], v[2:3], -v[4:5]
	v_mul_f64 v[2:3], s[14:15], v[2:3]
	v_fmac_f64_e32 v[2:3], s[12:13], v[0:1]
	s_waitcnt vmcnt(0)
	v_add_f64 v[0:1], v[36:37], v[4:5]
	v_add_f64 v[2:3], v[38:39], v[2:3]
	flat_store_dwordx4 v[20:21], v[0:3]
	s_branch .LBB55_6
.LBB55_13:
	s_endpgm
	.section	.rodata,"a",@progbits
	.p2align	6, 0x0
	.amdhsa_kernel _ZL24rocblas_symm_hemm_kernelILb0ELb1ELi32E19rocblas_complex_numIdEPKPKS1_PKPS1_EvbiiT2_T3_lllSA_lllT4_llli
		.amdhsa_group_segment_fixed_size 32768
		.amdhsa_private_segment_fixed_size 0
		.amdhsa_kernarg_size 392
		.amdhsa_user_sgpr_count 2
		.amdhsa_user_sgpr_dispatch_ptr 0
		.amdhsa_user_sgpr_queue_ptr 0
		.amdhsa_user_sgpr_kernarg_segment_ptr 1
		.amdhsa_user_sgpr_dispatch_id 0
		.amdhsa_user_sgpr_kernarg_preload_length 0
		.amdhsa_user_sgpr_kernarg_preload_offset 0
		.amdhsa_user_sgpr_private_segment_size 0
		.amdhsa_uses_dynamic_stack 0
		.amdhsa_enable_private_segment 0
		.amdhsa_system_sgpr_workgroup_id_x 1
		.amdhsa_system_sgpr_workgroup_id_y 1
		.amdhsa_system_sgpr_workgroup_id_z 1
		.amdhsa_system_sgpr_workgroup_info 0
		.amdhsa_system_vgpr_workitem_id 1
		.amdhsa_next_free_vgpr 40
		.amdhsa_next_free_sgpr 32
		.amdhsa_accum_offset 40
		.amdhsa_reserve_vcc 1
		.amdhsa_float_round_mode_32 0
		.amdhsa_float_round_mode_16_64 0
		.amdhsa_float_denorm_mode_32 3
		.amdhsa_float_denorm_mode_16_64 3
		.amdhsa_dx10_clamp 1
		.amdhsa_ieee_mode 1
		.amdhsa_fp16_overflow 0
		.amdhsa_tg_split 0
		.amdhsa_exception_fp_ieee_invalid_op 0
		.amdhsa_exception_fp_denorm_src 0
		.amdhsa_exception_fp_ieee_div_zero 0
		.amdhsa_exception_fp_ieee_overflow 0
		.amdhsa_exception_fp_ieee_underflow 0
		.amdhsa_exception_fp_ieee_inexact 0
		.amdhsa_exception_int_div_zero 0
	.end_amdhsa_kernel
	.section	.text._ZL24rocblas_symm_hemm_kernelILb0ELb1ELi32E19rocblas_complex_numIdEPKPKS1_PKPS1_EvbiiT2_T3_lllSA_lllT4_llli,"axG",@progbits,_ZL24rocblas_symm_hemm_kernelILb0ELb1ELi32E19rocblas_complex_numIdEPKPKS1_PKPS1_EvbiiT2_T3_lllSA_lllT4_llli,comdat
.Lfunc_end55:
	.size	_ZL24rocblas_symm_hemm_kernelILb0ELb1ELi32E19rocblas_complex_numIdEPKPKS1_PKPS1_EvbiiT2_T3_lllSA_lllT4_llli, .Lfunc_end55-_ZL24rocblas_symm_hemm_kernelILb0ELb1ELi32E19rocblas_complex_numIdEPKPKS1_PKPS1_EvbiiT2_T3_lllSA_lllT4_llli
                                        ; -- End function
	.set _ZL24rocblas_symm_hemm_kernelILb0ELb1ELi32E19rocblas_complex_numIdEPKPKS1_PKPS1_EvbiiT2_T3_lllSA_lllT4_llli.num_vgpr, 40
	.set _ZL24rocblas_symm_hemm_kernelILb0ELb1ELi32E19rocblas_complex_numIdEPKPKS1_PKPS1_EvbiiT2_T3_lllSA_lllT4_llli.num_agpr, 0
	.set _ZL24rocblas_symm_hemm_kernelILb0ELb1ELi32E19rocblas_complex_numIdEPKPKS1_PKPS1_EvbiiT2_T3_lllSA_lllT4_llli.numbered_sgpr, 32
	.set _ZL24rocblas_symm_hemm_kernelILb0ELb1ELi32E19rocblas_complex_numIdEPKPKS1_PKPS1_EvbiiT2_T3_lllSA_lllT4_llli.num_named_barrier, 0
	.set _ZL24rocblas_symm_hemm_kernelILb0ELb1ELi32E19rocblas_complex_numIdEPKPKS1_PKPS1_EvbiiT2_T3_lllSA_lllT4_llli.private_seg_size, 0
	.set _ZL24rocblas_symm_hemm_kernelILb0ELb1ELi32E19rocblas_complex_numIdEPKPKS1_PKPS1_EvbiiT2_T3_lllSA_lllT4_llli.uses_vcc, 1
	.set _ZL24rocblas_symm_hemm_kernelILb0ELb1ELi32E19rocblas_complex_numIdEPKPKS1_PKPS1_EvbiiT2_T3_lllSA_lllT4_llli.uses_flat_scratch, 0
	.set _ZL24rocblas_symm_hemm_kernelILb0ELb1ELi32E19rocblas_complex_numIdEPKPKS1_PKPS1_EvbiiT2_T3_lllSA_lllT4_llli.has_dyn_sized_stack, 0
	.set _ZL24rocblas_symm_hemm_kernelILb0ELb1ELi32E19rocblas_complex_numIdEPKPKS1_PKPS1_EvbiiT2_T3_lllSA_lllT4_llli.has_recursion, 0
	.set _ZL24rocblas_symm_hemm_kernelILb0ELb1ELi32E19rocblas_complex_numIdEPKPKS1_PKPS1_EvbiiT2_T3_lllSA_lllT4_llli.has_indirect_call, 0
	.section	.AMDGPU.csdata,"",@progbits
; Kernel info:
; codeLenInByte = 2820
; TotalNumSgprs: 38
; NumVgprs: 40
; NumAgprs: 0
; TotalNumVgprs: 40
; ScratchSize: 0
; MemoryBound: 1
; FloatMode: 240
; IeeeMode: 1
; LDSByteSize: 32768 bytes/workgroup (compile time only)
; SGPRBlocks: 4
; VGPRBlocks: 4
; NumSGPRsForWavesPerEU: 38
; NumVGPRsForWavesPerEU: 40
; AccumOffset: 40
; Occupancy: 8
; WaveLimiterHint : 1
; COMPUTE_PGM_RSRC2:SCRATCH_EN: 0
; COMPUTE_PGM_RSRC2:USER_SGPR: 2
; COMPUTE_PGM_RSRC2:TRAP_HANDLER: 0
; COMPUTE_PGM_RSRC2:TGID_X_EN: 1
; COMPUTE_PGM_RSRC2:TGID_Y_EN: 1
; COMPUTE_PGM_RSRC2:TGID_Z_EN: 1
; COMPUTE_PGM_RSRC2:TIDIG_COMP_CNT: 1
; COMPUTE_PGM_RSRC3_GFX90A:ACCUM_OFFSET: 9
; COMPUTE_PGM_RSRC3_GFX90A:TG_SPLIT: 0
	.section	.text._ZL24rocblas_symm_hemm_kernelILb1ELb0ELi32EPK19rocblas_complex_numIfEPKS3_PKPS1_EvbiiT2_T3_lllSA_lllT4_llli,"axG",@progbits,_ZL24rocblas_symm_hemm_kernelILb1ELb0ELi32EPK19rocblas_complex_numIfEPKS3_PKPS1_EvbiiT2_T3_lllSA_lllT4_llli,comdat
	.globl	_ZL24rocblas_symm_hemm_kernelILb1ELb0ELi32EPK19rocblas_complex_numIfEPKS3_PKPS1_EvbiiT2_T3_lllSA_lllT4_llli ; -- Begin function _ZL24rocblas_symm_hemm_kernelILb1ELb0ELi32EPK19rocblas_complex_numIfEPKS3_PKPS1_EvbiiT2_T3_lllSA_lllT4_llli
	.p2align	8
	.type	_ZL24rocblas_symm_hemm_kernelILb1ELb0ELi32EPK19rocblas_complex_numIfEPKS3_PKPS1_EvbiiT2_T3_lllSA_lllT4_llli,@function
_ZL24rocblas_symm_hemm_kernelILb1ELb0ELi32EPK19rocblas_complex_numIfEPKS3_PKPS1_EvbiiT2_T3_lllSA_lllT4_llli: ; @_ZL24rocblas_symm_hemm_kernelILb1ELb0ELi32EPK19rocblas_complex_numIfEPKS3_PKPS1_EvbiiT2_T3_lllSA_lllT4_llli
; %bb.0:
	s_load_dwordx8 s[8:15], s[0:1], 0x10
	s_waitcnt lgkmcnt(0)
	s_load_dwordx2 s[20:21], s[8:9], 0x0
	s_waitcnt lgkmcnt(0)
	v_cmp_eq_f32_e64 s[6:7], s20, 0
	v_cmp_eq_f32_e64 s[8:9], s21, 0
	s_and_b64 s[6:7], s[6:7], s[8:9]
	s_and_b64 vcc, exec, s[6:7]
	s_cbranch_vccnz .LBB56_21
; %bb.1:
	s_load_dwordx4 s[16:19], s[0:1], 0x0
	s_waitcnt lgkmcnt(0)
	s_add_i32 s5, s18, -1
	s_ashr_i32 s6, s5, 31
	s_lshr_b32 s6, s6, 27
	s_add_i32 s5, s5, s6
	s_ashr_i32 s19, s5, 5
	s_cmp_gt_i32 s3, s19
	s_cbranch_scc1 .LBB56_21
; %bb.2:
	s_load_dwordx4 s[24:27], s[0:1], 0x38
	s_load_dwordx2 s[22:23], s[0:1], 0x48
	s_mov_b32 s5, 0
	s_lshl_b64 s[4:5], s[4:5], 3
	s_add_u32 s6, s10, s4
	s_addc_u32 s7, s11, s5
	s_waitcnt lgkmcnt(0)
	s_add_u32 s28, s24, s4
	s_addc_u32 s29, s25, s5
	s_load_dwordx2 s[30:31], s[28:29], 0x0
	s_load_dwordx4 s[8:11], s[0:1], 0x58
	s_load_dwordx2 s[24:25], s[0:1], 0x68
	s_lshl_b64 s[26:27], s[26:27], 3
	v_and_b32_e32 v22, 0x3ff, v0
	s_waitcnt lgkmcnt(0)
	s_add_u32 s26, s30, s26
	s_addc_u32 s27, s31, s27
	s_add_u32 s4, s8, s4
	s_addc_u32 s5, s9, s5
	s_load_dwordx2 s[8:9], s[4:5], 0x0
	s_load_dwordx2 s[28:29], s[6:7], 0x0
	s_bitcmp1_b32 s16, 0
	s_cselect_b64 s[6:7], -1, 0
	s_lshl_b64 s[4:5], s[10:11], 3
	s_waitcnt lgkmcnt(0)
	s_add_u32 s4, s8, s4
	s_addc_u32 s5, s9, s5
	s_lshl_b64 s[8:9], s[12:13], 3
	s_add_u32 s8, s28, s8
	v_lshl_add_u32 v8, s2, 5, v22
	s_addc_u32 s9, s29, s9
	v_ashrrev_i32_e32 v9, 31, v8
	s_load_dword s2, s[0:1], 0x84
	v_bfe_u32 v23, v0, 10, 10
	s_cmp_gt_i32 s17, 0
	v_mul_lo_u32 v4, s14, v9
	v_mul_lo_u32 v5, s15, v8
	v_mad_u64_u32 v[2:3], s[10:11], s14, v8, 0
	v_lshlrev_b64 v[0:1], 3, v[8:9]
	v_add3_u32 v3, v3, v4, v5
	v_lshlrev_b32_e32 v4, 3, v23
	s_cselect_b64 s[0:1], -1, 0
	v_lshl_add_u64 v[10:11], s[8:9], 0, v[0:1]
	v_lshlrev_b64 v[2:3], 3, v[2:3]
	v_lshlrev_b32_e32 v9, 8, v22
	v_or_b32_e32 v25, 0x2000, v4
	v_lshl_add_u64 v[14:15], s[4:5], 0, v[0:1]
	v_cndmask_b32_e64 v0, 0, 1, s[0:1]
	v_lshl_add_u64 v[12:13], s[8:9], 0, v[2:3]
	v_add_u32_e32 v24, v9, v4
	v_add_u32_e32 v26, v25, v9
	v_cmp_gt_i32_e64 s[8:9], s17, v8
	v_lshl_add_u64 v[16:17], v[10:11], 0, v[2:3]
	s_mov_b32 s12, s21
	s_mov_b32 s13, s20
	v_cmp_ne_u32_e64 s[4:5], 1, v0
	v_add_u32_e32 v27, 0x800, v25
	v_add_u32_e32 v28, 0x1000, v25
	;; [unrolled: 1-line block ×3, first 2 shown]
	s_branch .LBB56_4
.LBB56_3:                               ;   in Loop: Header=BB56_4 Depth=1
	s_waitcnt lgkmcnt(0)
	s_add_i32 s3, s3, s2
	s_cmp_gt_i32 s3, s19
	s_cbranch_scc1 .LBB56_21
.LBB56_4:                               ; =>This Loop Header: Depth=1
                                        ;     Child Loop BB56_7 Depth 2
	s_and_b64 vcc, exec, s[4:5]
	s_cbranch_vccnz .LBB56_3
; %bb.5:                                ;   in Loop: Header=BB56_4 Depth=1
	v_lshl_add_u32 v2, s3, 5, v23
	v_ashrrev_i32_e32 v3, 31, v2
	v_mul_lo_u32 v4, s22, v3
	v_mul_lo_u32 v5, s23, v2
	v_mad_u64_u32 v[0:1], s[0:1], s22, v2, 0
	v_add3_u32 v1, v1, v4, v5
	v_lshl_add_u64 v[18:19], v[0:1], 3, s[26:27]
	v_mul_lo_u32 v3, s24, v3
	v_mul_lo_u32 v4, s25, v2
	v_mad_u64_u32 v[0:1], s[0:1], s24, v2, 0
	v_cmp_gt_i32_e32 vcc, s18, v2
	v_add3_u32 v1, v1, v3, v4
	s_and_b64 s[28:29], s[8:9], vcc
	v_lshl_add_u64 v[20:21], v[0:1], 3, v[14:15]
	s_mov_b32 s16, 0
	s_branch .LBB56_7
.LBB56_6:                               ;   in Loop: Header=BB56_7 Depth=2
	s_or_b64 exec, exec, s[0:1]
	s_add_i32 s16, s16, 32
	s_cmp_ge_i32 s16, s17
	s_waitcnt lgkmcnt(0)
	s_barrier
	s_cbranch_scc1 .LBB56_3
.LBB56_7:                               ;   Parent Loop BB56_4 Depth=1
                                        ; =>  This Inner Loop Header: Depth=2
	v_add_u32_e32 v4, s16, v23
	v_cndmask_b32_e64 v0, v4, v8, s[6:7]
	v_cndmask_b32_e64 v1, v8, v4, s[6:7]
	v_cmp_gt_i32_e64 s[10:11], v0, v1
	v_cmp_le_i32_e64 s[0:1], v0, v1
	v_mov_b32_e32 v2, 0
	v_cndmask_b32_e64 v0, v8, v4, s[10:11]
	v_cndmask_b32_e64 v1, v4, v8, s[10:11]
	v_max_i32_e32 v0, v0, v1
	v_cmp_gt_i32_e64 s[10:11], s17, v0
	v_mov_b32_e32 v0, 0
	v_mov_b32_e32 v3, 0
	s_and_saveexec_b64 s[30:31], s[10:11]
	s_cbranch_execz .LBB56_17
; %bb.8:                                ;   in Loop: Header=BB56_7 Depth=2
                                        ; implicit-def: $vgpr3
	s_and_saveexec_b64 s[10:11], s[0:1]
	s_xor_b64 s[10:11], exec, s[10:11]
	s_cbranch_execz .LBB56_14
; %bb.9:                                ;   in Loop: Header=BB56_7 Depth=2
	v_cmp_ne_u32_e64 s[0:1], v4, v8
                                        ; implicit-def: $vgpr3
	s_and_saveexec_b64 s[34:35], s[0:1]
	s_xor_b64 s[0:1], exec, s[34:35]
	s_cbranch_execz .LBB56_11
; %bb.10:                               ;   in Loop: Header=BB56_7 Depth=2
	v_ashrrev_i32_e32 v1, 31, v4
	v_mul_lo_u32 v5, s15, v4
	v_mul_lo_u32 v1, s14, v1
	v_mad_u64_u32 v[2:3], s[34:35], s14, v4, 0
	v_add3_u32 v3, v3, v1, v5
	v_lshl_add_u64 v[2:3], v[2:3], 3, v[10:11]
	flat_load_dwordx2 v[2:3], v[2:3]
.LBB56_11:                              ;   in Loop: Header=BB56_7 Depth=2
	s_andn2_saveexec_b64 s[0:1], s[0:1]
	s_cbranch_execz .LBB56_13
; %bb.12:                               ;   in Loop: Header=BB56_7 Depth=2
	s_waitcnt vmcnt(0) lgkmcnt(0)
	flat_load_dword v2, v[16:17]
	v_mov_b32_e32 v3, 0
.LBB56_13:                              ;   in Loop: Header=BB56_7 Depth=2
	s_or_b64 exec, exec, s[0:1]
                                        ; implicit-def: $vgpr4
.LBB56_14:                              ;   in Loop: Header=BB56_7 Depth=2
	s_andn2_saveexec_b64 s[0:1], s[10:11]
	s_cbranch_execz .LBB56_16
; %bb.15:                               ;   in Loop: Header=BB56_7 Depth=2
	v_ashrrev_i32_e32 v5, 31, v4
	s_waitcnt vmcnt(0) lgkmcnt(0)
	v_lshl_add_u64 v[2:3], v[4:5], 3, v[12:13]
	flat_load_dwordx2 v[2:3], v[2:3]
	s_waitcnt vmcnt(0) lgkmcnt(0)
	v_xor_b32_e32 v3, 0x80000000, v3
.LBB56_16:                              ;   in Loop: Header=BB56_7 Depth=2
	s_or_b64 exec, exec, s[0:1]
.LBB56_17:                              ;   in Loop: Header=BB56_7 Depth=2
	s_or_b64 exec, exec, s[30:31]
	s_waitcnt vmcnt(0) lgkmcnt(0)
	ds_write_b64 v24, v[2:3]
	v_add_u32_e32 v2, s16, v22
	v_cmp_gt_i32_e64 s[0:1], s17, v2
	s_and_b64 s[10:11], s[0:1], vcc
	v_mov_b32_e32 v1, 0
	s_and_saveexec_b64 s[0:1], s[10:11]
	s_cbranch_execz .LBB56_19
; %bb.18:                               ;   in Loop: Header=BB56_7 Depth=2
	v_ashrrev_i32_e32 v3, 31, v2
	v_lshl_add_u64 v[0:1], v[2:3], 3, v[18:19]
	flat_load_dwordx2 v[0:1], v[0:1]
.LBB56_19:                              ;   in Loop: Header=BB56_7 Depth=2
	s_or_b64 exec, exec, s[0:1]
	s_waitcnt vmcnt(0) lgkmcnt(0)
	ds_write_b64 v26, v[0:1]
	s_waitcnt lgkmcnt(0)
	s_barrier
	s_and_saveexec_b64 s[0:1], s[28:29]
	s_cbranch_execz .LBB56_6
; %bb.20:                               ;   in Loop: Header=BB56_7 Depth=2
	ds_read2_b64 v[0:3], v25 offset1:32
	ds_read_b128 v[4:7], v9
	ds_read_b128 v[30:33], v9 offset:16
	ds_read_b128 v[34:37], v9 offset:32
	;; [unrolled: 1-line block ×3, first 2 shown]
	s_waitcnt lgkmcnt(3)
	v_mul_f32_e32 v42, v1, v5
	v_fma_f32 v42, v0, v4, -v42
	v_mul_f32_e32 v0, v0, v5
	v_fmac_f32_e32 v0, v1, v4
	v_add_f32_e32 v1, 0, v42
	ds_read2_b64 v[42:45], v25 offset0:64 offset1:96
	v_mul_f32_e32 v4, v3, v7
	v_fma_f32 v4, v2, v6, -v4
	v_mul_f32_e32 v2, v2, v7
	v_add_f32_e32 v0, 0, v0
	v_fmac_f32_e32 v2, v3, v6
	s_waitcnt lgkmcnt(0)
	v_mul_f32_e32 v3, v42, v31
	v_add_f32_e32 v0, v0, v2
	v_mul_f32_e32 v2, v43, v31
	v_fmac_f32_e32 v3, v43, v30
	v_add_f32_e32 v1, v1, v4
	v_fma_f32 v2, v42, v30, -v2
	v_add_f32_e32 v5, v0, v3
	v_mul_f32_e32 v0, v45, v33
	v_add_f32_e32 v4, v1, v2
	v_fma_f32 v6, v44, v32, -v0
	ds_read2_b64 v[0:3], v25 offset0:128 offset1:160
	v_mul_f32_e32 v7, v44, v33
	v_add_f32_e32 v4, v4, v6
	v_fmac_f32_e32 v7, v45, v32
	v_add_f32_e32 v5, v5, v7
	s_waitcnt lgkmcnt(0)
	v_mul_f32_e32 v6, v1, v35
	v_fma_f32 v6, v0, v34, -v6
	v_mul_f32_e32 v0, v0, v35
	v_fmac_f32_e32 v0, v1, v34
	v_add_f32_e32 v1, v4, v6
	v_mul_f32_e32 v4, v3, v37
	v_add_f32_e32 v0, v5, v0
	v_fma_f32 v30, v2, v36, -v4
	ds_read2_b64 v[4:7], v25 offset0:192 offset1:224
	v_mul_f32_e32 v2, v2, v37
	v_fmac_f32_e32 v2, v3, v36
	v_add_f32_e32 v0, v0, v2
	v_add_f32_e32 v1, v1, v30
	s_waitcnt lgkmcnt(0)
	v_mul_f32_e32 v3, v4, v39
	v_mul_f32_e32 v2, v5, v39
	v_fmac_f32_e32 v3, v5, v38
	v_fma_f32 v2, v4, v38, -v2
	v_add_f32_e32 v5, v0, v3
	v_mul_f32_e32 v0, v7, v41
	v_add_f32_e32 v4, v1, v2
	v_fma_f32 v34, v6, v40, -v0
	ds_read_b128 v[0:3], v9 offset:64
	ds_read2_b64 v[30:33], v27 offset1:32
	v_mul_f32_e32 v6, v6, v41
	v_fmac_f32_e32 v6, v7, v40
	v_add_f32_e32 v34, v4, v34
	v_add_f32_e32 v35, v5, v6
	s_waitcnt lgkmcnt(0)
	v_mul_f32_e32 v36, v31, v1
	v_mul_f32_e32 v1, v30, v1
	v_fma_f32 v36, v30, v0, -v36
	v_fmac_f32_e32 v1, v31, v0
	ds_read_b128 v[4:7], v9 offset:80
	v_add_f32_e32 v0, v34, v36
	v_add_f32_e32 v1, v35, v1
	ds_read2_b64 v[34:37], v27 offset0:64 offset1:96
	v_mul_f32_e32 v30, v33, v3
	v_mul_f32_e32 v3, v32, v3
	v_fma_f32 v30, v32, v2, -v30
	v_fmac_f32_e32 v3, v33, v2
	s_waitcnt lgkmcnt(0)
	v_mul_f32_e32 v2, v35, v5
	v_add_f32_e32 v0, v0, v30
	v_add_f32_e32 v1, v1, v3
	v_fma_f32 v2, v34, v4, -v2
	v_mul_f32_e32 v3, v34, v5
	v_fmac_f32_e32 v3, v35, v4
	v_add_f32_e32 v4, v0, v2
	v_mul_f32_e32 v0, v37, v7
	v_add_f32_e32 v5, v1, v3
	v_fma_f32 v34, v36, v6, -v0
	ds_read_b128 v[0:3], v9 offset:96
	ds_read2_b64 v[30:33], v27 offset0:128 offset1:160
	v_mul_f32_e32 v7, v36, v7
	v_fmac_f32_e32 v7, v37, v6
	v_add_f32_e32 v34, v4, v34
	v_add_f32_e32 v35, v5, v7
	s_waitcnt lgkmcnt(0)
	v_mul_f32_e32 v36, v31, v1
	v_mul_f32_e32 v1, v30, v1
	v_fma_f32 v36, v30, v0, -v36
	v_fmac_f32_e32 v1, v31, v0
	ds_read_b128 v[4:7], v9 offset:112
	v_add_f32_e32 v0, v34, v36
	v_add_f32_e32 v1, v35, v1
	ds_read2_b64 v[34:37], v27 offset0:192 offset1:224
	v_mul_f32_e32 v30, v33, v3
	v_mul_f32_e32 v3, v32, v3
	v_fma_f32 v30, v32, v2, -v30
	v_fmac_f32_e32 v3, v33, v2
	s_waitcnt lgkmcnt(0)
	v_mul_f32_e32 v2, v35, v5
	v_add_f32_e32 v0, v0, v30
	v_add_f32_e32 v1, v1, v3
	v_fma_f32 v2, v34, v4, -v2
	v_mul_f32_e32 v3, v34, v5
	v_fmac_f32_e32 v3, v35, v4
	v_add_f32_e32 v4, v0, v2
	v_mul_f32_e32 v0, v37, v7
	v_add_f32_e32 v5, v1, v3
	v_fma_f32 v34, v36, v6, -v0
	ds_read_b128 v[0:3], v9 offset:128
	ds_read2_b64 v[30:33], v28 offset1:32
	v_mul_f32_e32 v7, v36, v7
	v_fmac_f32_e32 v7, v37, v6
	v_add_f32_e32 v4, v4, v34
	ds_read_b128 v[34:37], v9 offset:144
	ds_read2_b64 v[38:41], v28 offset0:64 offset1:96
	s_waitcnt lgkmcnt(2)
	v_mul_f32_e32 v6, v31, v1
	v_fma_f32 v6, v30, v0, -v6
	v_mul_f32_e32 v1, v30, v1
	v_add_f32_e32 v5, v5, v7
	v_fmac_f32_e32 v1, v31, v0
	v_add_f32_e32 v0, v4, v6
	v_mul_f32_e32 v4, v33, v3
	v_mul_f32_e32 v3, v32, v3
	v_add_f32_e32 v1, v5, v1
	v_fma_f32 v4, v32, v2, -v4
	v_fmac_f32_e32 v3, v33, v2
	s_waitcnt lgkmcnt(0)
	v_mul_f32_e32 v2, v39, v35
	v_add_f32_e32 v0, v0, v4
	v_add_f32_e32 v1, v1, v3
	v_fma_f32 v2, v38, v34, -v2
	v_mul_f32_e32 v3, v38, v35
	v_fmac_f32_e32 v3, v39, v34
	v_add_f32_e32 v30, v0, v2
	v_mul_f32_e32 v0, v41, v37
	v_add_f32_e32 v31, v1, v3
	v_fma_f32 v32, v40, v36, -v0
	ds_read_b128 v[0:3], v9 offset:160
	ds_read2_b64 v[4:7], v28 offset0:128 offset1:160
	flat_load_dwordx2 v[38:39], v[20:21]
	v_mul_f32_e32 v33, v40, v37
	v_fmac_f32_e32 v33, v41, v36
	v_add_f32_e32 v34, v30, v32
	s_waitcnt lgkmcnt(0)
	v_mul_f32_e32 v36, v5, v1
	v_mul_f32_e32 v1, v4, v1
	v_add_f32_e32 v35, v31, v33
	v_fma_f32 v36, v4, v0, -v36
	v_fmac_f32_e32 v1, v5, v0
	ds_read_b128 v[30:33], v9 offset:176
	v_add_f32_e32 v0, v34, v36
	v_add_f32_e32 v1, v35, v1
	ds_read2_b64 v[34:37], v28 offset0:192 offset1:224
	v_mul_f32_e32 v4, v7, v3
	v_mul_f32_e32 v3, v6, v3
	v_fma_f32 v4, v6, v2, -v4
	v_fmac_f32_e32 v3, v7, v2
	s_waitcnt lgkmcnt(0)
	v_mul_f32_e32 v2, v35, v31
	v_add_f32_e32 v0, v0, v4
	v_add_f32_e32 v1, v1, v3
	v_fma_f32 v2, v34, v30, -v2
	v_mul_f32_e32 v3, v34, v31
	v_fmac_f32_e32 v3, v35, v30
	v_add_f32_e32 v30, v0, v2
	v_mul_f32_e32 v0, v37, v33
	v_add_f32_e32 v31, v1, v3
	v_fma_f32 v34, v36, v32, -v0
	ds_read_b128 v[0:3], v9 offset:192
	ds_read2_b64 v[4:7], v29 offset1:32
	v_mul_f32_e32 v33, v36, v33
	v_fmac_f32_e32 v33, v37, v32
	v_add_f32_e32 v34, v30, v34
	v_add_f32_e32 v35, v31, v33
	s_waitcnt lgkmcnt(0)
	v_mul_f32_e32 v36, v5, v1
	v_mul_f32_e32 v1, v4, v1
	v_fma_f32 v36, v4, v0, -v36
	v_fmac_f32_e32 v1, v5, v0
	ds_read_b128 v[30:33], v9 offset:208
	v_add_f32_e32 v0, v34, v36
	v_add_f32_e32 v1, v35, v1
	ds_read2_b64 v[34:37], v29 offset0:64 offset1:96
	v_mul_f32_e32 v4, v7, v3
	v_mul_f32_e32 v3, v6, v3
	v_fma_f32 v4, v6, v2, -v4
	v_fmac_f32_e32 v3, v7, v2
	s_waitcnt lgkmcnt(0)
	v_mul_f32_e32 v2, v35, v31
	v_add_f32_e32 v0, v0, v4
	v_add_f32_e32 v1, v1, v3
	v_fma_f32 v2, v34, v30, -v2
	v_mul_f32_e32 v3, v34, v31
	v_fmac_f32_e32 v3, v35, v30
	v_add_f32_e32 v30, v0, v2
	v_mul_f32_e32 v0, v37, v33
	v_add_f32_e32 v31, v1, v3
	v_fma_f32 v34, v36, v32, -v0
	ds_read_b128 v[0:3], v9 offset:224
	ds_read2_b64 v[4:7], v29 offset0:128 offset1:160
	v_mul_f32_e32 v33, v36, v33
	v_fmac_f32_e32 v33, v37, v32
	v_add_f32_e32 v34, v30, v34
	v_add_f32_e32 v35, v31, v33
	s_waitcnt lgkmcnt(0)
	v_mul_f32_e32 v36, v5, v1
	v_mul_f32_e32 v1, v4, v1
	v_fma_f32 v36, v4, v0, -v36
	v_fmac_f32_e32 v1, v5, v0
	ds_read_b128 v[30:33], v9 offset:240
	v_add_f32_e32 v0, v34, v36
	v_add_f32_e32 v1, v35, v1
	ds_read2_b64 v[34:37], v29 offset0:192 offset1:224
	v_mul_f32_e32 v4, v7, v3
	v_mul_f32_e32 v3, v6, v3
	v_fmac_f32_e32 v3, v7, v2
	v_fma_f32 v4, v6, v2, -v4
	v_add_f32_e32 v1, v1, v3
	s_waitcnt lgkmcnt(0)
	v_mul_f32_e32 v2, v35, v31
	v_mul_f32_e32 v3, v34, v31
	v_add_f32_e32 v0, v0, v4
	v_fma_f32 v2, v34, v30, -v2
	v_fmac_f32_e32 v3, v35, v30
	v_add_f32_e32 v0, v0, v2
	v_add_f32_e32 v1, v1, v3
	v_mul_f32_e32 v2, v37, v33
	v_mul_f32_e32 v3, v36, v33
	v_fma_f32 v2, v36, v32, -v2
	v_fmac_f32_e32 v3, v37, v32
	v_add_f32_e32 v0, v0, v2
	v_add_f32_e32 v2, v1, v3
	v_pk_mul_f32 v[2:3], s[12:13], v[2:3] op_sel_hi:[1,0]
	s_nop 0
	v_pk_fma_f32 v[4:5], s[20:21], v[0:1], v[2:3] neg_lo:[0,0,1] neg_hi:[0,0,1]
	v_pk_fma_f32 v[0:1], s[20:21], v[0:1], v[2:3] op_sel_hi:[1,0,1]
	s_nop 0
	v_mov_b32_e32 v5, v1
	s_waitcnt vmcnt(0)
	v_pk_add_f32 v[0:1], v[38:39], v[4:5]
	flat_store_dwordx2 v[20:21], v[0:1]
	s_branch .LBB56_6
.LBB56_21:
	s_endpgm
	.section	.rodata,"a",@progbits
	.p2align	6, 0x0
	.amdhsa_kernel _ZL24rocblas_symm_hemm_kernelILb1ELb0ELi32EPK19rocblas_complex_numIfEPKS3_PKPS1_EvbiiT2_T3_lllSA_lllT4_llli
		.amdhsa_group_segment_fixed_size 16384
		.amdhsa_private_segment_fixed_size 0
		.amdhsa_kernarg_size 384
		.amdhsa_user_sgpr_count 2
		.amdhsa_user_sgpr_dispatch_ptr 0
		.amdhsa_user_sgpr_queue_ptr 0
		.amdhsa_user_sgpr_kernarg_segment_ptr 1
		.amdhsa_user_sgpr_dispatch_id 0
		.amdhsa_user_sgpr_kernarg_preload_length 0
		.amdhsa_user_sgpr_kernarg_preload_offset 0
		.amdhsa_user_sgpr_private_segment_size 0
		.amdhsa_uses_dynamic_stack 0
		.amdhsa_enable_private_segment 0
		.amdhsa_system_sgpr_workgroup_id_x 1
		.amdhsa_system_sgpr_workgroup_id_y 1
		.amdhsa_system_sgpr_workgroup_id_z 1
		.amdhsa_system_sgpr_workgroup_info 0
		.amdhsa_system_vgpr_workitem_id 1
		.amdhsa_next_free_vgpr 46
		.amdhsa_next_free_sgpr 36
		.amdhsa_accum_offset 48
		.amdhsa_reserve_vcc 1
		.amdhsa_float_round_mode_32 0
		.amdhsa_float_round_mode_16_64 0
		.amdhsa_float_denorm_mode_32 3
		.amdhsa_float_denorm_mode_16_64 3
		.amdhsa_dx10_clamp 1
		.amdhsa_ieee_mode 1
		.amdhsa_fp16_overflow 0
		.amdhsa_tg_split 0
		.amdhsa_exception_fp_ieee_invalid_op 0
		.amdhsa_exception_fp_denorm_src 0
		.amdhsa_exception_fp_ieee_div_zero 0
		.amdhsa_exception_fp_ieee_overflow 0
		.amdhsa_exception_fp_ieee_underflow 0
		.amdhsa_exception_fp_ieee_inexact 0
		.amdhsa_exception_int_div_zero 0
	.end_amdhsa_kernel
	.section	.text._ZL24rocblas_symm_hemm_kernelILb1ELb0ELi32EPK19rocblas_complex_numIfEPKS3_PKPS1_EvbiiT2_T3_lllSA_lllT4_llli,"axG",@progbits,_ZL24rocblas_symm_hemm_kernelILb1ELb0ELi32EPK19rocblas_complex_numIfEPKS3_PKPS1_EvbiiT2_T3_lllSA_lllT4_llli,comdat
.Lfunc_end56:
	.size	_ZL24rocblas_symm_hemm_kernelILb1ELb0ELi32EPK19rocblas_complex_numIfEPKS3_PKPS1_EvbiiT2_T3_lllSA_lllT4_llli, .Lfunc_end56-_ZL24rocblas_symm_hemm_kernelILb1ELb0ELi32EPK19rocblas_complex_numIfEPKS3_PKPS1_EvbiiT2_T3_lllSA_lllT4_llli
                                        ; -- End function
	.set _ZL24rocblas_symm_hemm_kernelILb1ELb0ELi32EPK19rocblas_complex_numIfEPKS3_PKPS1_EvbiiT2_T3_lllSA_lllT4_llli.num_vgpr, 46
	.set _ZL24rocblas_symm_hemm_kernelILb1ELb0ELi32EPK19rocblas_complex_numIfEPKS3_PKPS1_EvbiiT2_T3_lllSA_lllT4_llli.num_agpr, 0
	.set _ZL24rocblas_symm_hemm_kernelILb1ELb0ELi32EPK19rocblas_complex_numIfEPKS3_PKPS1_EvbiiT2_T3_lllSA_lllT4_llli.numbered_sgpr, 36
	.set _ZL24rocblas_symm_hemm_kernelILb1ELb0ELi32EPK19rocblas_complex_numIfEPKS3_PKPS1_EvbiiT2_T3_lllSA_lllT4_llli.num_named_barrier, 0
	.set _ZL24rocblas_symm_hemm_kernelILb1ELb0ELi32EPK19rocblas_complex_numIfEPKS3_PKPS1_EvbiiT2_T3_lllSA_lllT4_llli.private_seg_size, 0
	.set _ZL24rocblas_symm_hemm_kernelILb1ELb0ELi32EPK19rocblas_complex_numIfEPKS3_PKPS1_EvbiiT2_T3_lllSA_lllT4_llli.uses_vcc, 1
	.set _ZL24rocblas_symm_hemm_kernelILb1ELb0ELi32EPK19rocblas_complex_numIfEPKS3_PKPS1_EvbiiT2_T3_lllSA_lllT4_llli.uses_flat_scratch, 0
	.set _ZL24rocblas_symm_hemm_kernelILb1ELb0ELi32EPK19rocblas_complex_numIfEPKS3_PKPS1_EvbiiT2_T3_lllSA_lllT4_llli.has_dyn_sized_stack, 0
	.set _ZL24rocblas_symm_hemm_kernelILb1ELb0ELi32EPK19rocblas_complex_numIfEPKS3_PKPS1_EvbiiT2_T3_lllSA_lllT4_llli.has_recursion, 0
	.set _ZL24rocblas_symm_hemm_kernelILb1ELb0ELi32EPK19rocblas_complex_numIfEPKS3_PKPS1_EvbiiT2_T3_lllSA_lllT4_llli.has_indirect_call, 0
	.section	.AMDGPU.csdata,"",@progbits
; Kernel info:
; codeLenInByte = 2228
; TotalNumSgprs: 42
; NumVgprs: 46
; NumAgprs: 0
; TotalNumVgprs: 46
; ScratchSize: 0
; MemoryBound: 0
; FloatMode: 240
; IeeeMode: 1
; LDSByteSize: 16384 bytes/workgroup (compile time only)
; SGPRBlocks: 5
; VGPRBlocks: 5
; NumSGPRsForWavesPerEU: 42
; NumVGPRsForWavesPerEU: 46
; AccumOffset: 48
; Occupancy: 8
; WaveLimiterHint : 1
; COMPUTE_PGM_RSRC2:SCRATCH_EN: 0
; COMPUTE_PGM_RSRC2:USER_SGPR: 2
; COMPUTE_PGM_RSRC2:TRAP_HANDLER: 0
; COMPUTE_PGM_RSRC2:TGID_X_EN: 1
; COMPUTE_PGM_RSRC2:TGID_Y_EN: 1
; COMPUTE_PGM_RSRC2:TGID_Z_EN: 1
; COMPUTE_PGM_RSRC2:TIDIG_COMP_CNT: 1
; COMPUTE_PGM_RSRC3_GFX90A:ACCUM_OFFSET: 11
; COMPUTE_PGM_RSRC3_GFX90A:TG_SPLIT: 0
	.section	.text._ZL24rocblas_symm_hemm_kernelILb1ELb1ELi32EPK19rocblas_complex_numIfEPKS3_PKPS1_EvbiiT2_T3_lllSA_lllT4_llli,"axG",@progbits,_ZL24rocblas_symm_hemm_kernelILb1ELb1ELi32EPK19rocblas_complex_numIfEPKS3_PKPS1_EvbiiT2_T3_lllSA_lllT4_llli,comdat
	.globl	_ZL24rocblas_symm_hemm_kernelILb1ELb1ELi32EPK19rocblas_complex_numIfEPKS3_PKPS1_EvbiiT2_T3_lllSA_lllT4_llli ; -- Begin function _ZL24rocblas_symm_hemm_kernelILb1ELb1ELi32EPK19rocblas_complex_numIfEPKS3_PKPS1_EvbiiT2_T3_lllSA_lllT4_llli
	.p2align	8
	.type	_ZL24rocblas_symm_hemm_kernelILb1ELb1ELi32EPK19rocblas_complex_numIfEPKS3_PKPS1_EvbiiT2_T3_lllSA_lllT4_llli,@function
_ZL24rocblas_symm_hemm_kernelILb1ELb1ELi32EPK19rocblas_complex_numIfEPKS3_PKPS1_EvbiiT2_T3_lllSA_lllT4_llli: ; @_ZL24rocblas_symm_hemm_kernelILb1ELb1ELi32EPK19rocblas_complex_numIfEPKS3_PKPS1_EvbiiT2_T3_lllSA_lllT4_llli
; %bb.0:
	s_load_dwordx8 s[8:15], s[0:1], 0x10
	s_waitcnt lgkmcnt(0)
	s_load_dwordx2 s[20:21], s[8:9], 0x0
	s_waitcnt lgkmcnt(0)
	v_cmp_eq_f32_e64 s[6:7], s20, 0
	v_cmp_eq_f32_e64 s[8:9], s21, 0
	s_and_b64 s[6:7], s[6:7], s[8:9]
	s_and_b64 vcc, exec, s[6:7]
	s_cbranch_vccnz .LBB57_21
; %bb.1:
	s_load_dwordx4 s[16:19], s[0:1], 0x0
	s_waitcnt lgkmcnt(0)
	s_add_i32 s5, s18, -1
	s_ashr_i32 s6, s5, 31
	s_lshr_b32 s6, s6, 27
	s_add_i32 s5, s5, s6
	s_ashr_i32 s19, s5, 5
	s_cmp_gt_i32 s3, s19
	s_cbranch_scc1 .LBB57_21
; %bb.2:
	s_mov_b32 s5, 0
	s_lshl_b64 s[4:5], s[4:5], 3
	s_add_u32 s6, s10, s4
	s_addc_u32 s7, s11, s5
	s_load_dwordx2 s[8:9], s[6:7], 0x0
	s_load_dwordx4 s[24:27], s[0:1], 0x38
	s_load_dwordx2 s[10:11], s[0:1], 0x48
	s_load_dwordx4 s[28:31], s[0:1], 0x58
	s_load_dwordx2 s[22:23], s[0:1], 0x68
	s_lshl_b64 s[6:7], s[12:13], 3
	s_waitcnt lgkmcnt(0)
	s_add_u32 s12, s8, s6
	s_addc_u32 s13, s9, s7
	s_add_u32 s6, s24, s4
	s_addc_u32 s7, s25, s5
	;; [unrolled: 2-line block ×3, first 2 shown]
	s_load_dwordx2 s[8:9], s[4:5], 0x0
	s_load_dwordx2 s[24:25], s[6:7], 0x0
	s_bitcmp1_b32 s16, 0
	s_cselect_b64 s[6:7], -1, 0
	s_lshl_b64 s[4:5], s[30:31], 3
	s_waitcnt lgkmcnt(0)
	s_add_u32 s4, s8, s4
	s_addc_u32 s5, s9, s5
	s_lshl_b64 s[8:9], s[26:27], 3
	v_and_b32_e32 v22, 0x3ff, v0
	s_add_u32 s24, s24, s8
	v_lshl_add_u32 v2, s2, 5, v22
	s_load_dword s2, s[0:1], 0x84
	s_addc_u32 s25, s25, s9
	v_ashrrev_i32_e32 v3, 31, v2
	v_bfe_u32 v23, v0, 10, 10
	s_cmp_gt_i32 s18, 0
	v_lshlrev_b64 v[0:1], 3, v[2:3]
	s_cselect_b64 s[26:27], -1, 0
	v_cmp_gt_i32_e64 s[8:9], s17, v2
	v_lshl_add_u64 v[8:9], s[24:25], 0, v[0:1]
	v_lshlrev_b32_e32 v2, 3, v23
	v_lshl_add_u64 v[10:11], s[4:5], 0, v[0:1]
	v_lshl_add_u32 v0, s3, 5, v23
	v_lshlrev_b32_e32 v24, 8, v22
	v_or_b32_e32 v26, 0x2000, v2
	v_sub_u32_e32 v28, 0, v0
	v_cndmask_b32_e64 v0, 0, 1, s[26:27]
	v_add_u32_e32 v25, v24, v2
	v_add_u32_e32 v27, v26, v24
	s_mov_b32 s16, s21
	s_mov_b32 s17, s20
	s_waitcnt lgkmcnt(0)
	s_lshl_b32 s30, s2, 5
	v_cmp_ne_u32_e64 s[4:5], 1, v0
	v_add_u32_e32 v29, 0x800, v26
	v_add_u32_e32 v30, 0x1000, v26
	;; [unrolled: 1-line block ×3, first 2 shown]
	s_branch .LBB57_4
.LBB57_3:                               ;   in Loop: Header=BB57_4 Depth=1
	s_add_i32 s3, s3, s2
	s_cmp_gt_i32 s3, s19
	v_subrev_u32_e32 v28, s30, v28
	s_cbranch_scc1 .LBB57_21
.LBB57_4:                               ; =>This Loop Header: Depth=1
                                        ;     Child Loop BB57_7 Depth 2
	s_and_b64 vcc, exec, s[4:5]
	s_cbranch_vccnz .LBB57_3
; %bb.5:                                ;   in Loop: Header=BB57_4 Depth=1
	v_lshl_add_u32 v12, s3, 5, v23
	v_ashrrev_i32_e32 v13, 31, v12
	v_mul_lo_u32 v2, s14, v13
	v_mul_lo_u32 v3, s15, v12
	v_mad_u64_u32 v[0:1], s[0:1], s14, v12, 0
	v_add3_u32 v1, v1, v2, v3
	v_mul_lo_u32 v4, s22, v13
	v_mul_lo_u32 v5, s23, v12
	v_mad_u64_u32 v[2:3], s[0:1], s22, v12, 0
	v_lshl_add_u64 v[14:15], v[0:1], 3, s[12:13]
	v_lshlrev_b64 v[0:1], 3, v[12:13]
	v_cmp_gt_i32_e32 vcc, s18, v12
	v_add3_u32 v3, v3, v4, v5
	v_lshl_add_u64 v[16:17], s[12:13], 0, v[0:1]
	s_and_b64 s[24:25], s[8:9], vcc
	v_lshl_add_u64 v[18:19], v[2:3], 3, v[10:11]
	v_lshl_add_u64 v[20:21], v[14:15], 0, v[0:1]
	v_add_u32_e32 v13, v22, v28
	s_mov_b32 s31, 0
	s_branch .LBB57_7
.LBB57_6:                               ;   in Loop: Header=BB57_7 Depth=2
	s_or_b64 exec, exec, s[0:1]
	s_add_i32 s31, s31, 32
	s_cmp_ge_i32 s31, s18
	s_waitcnt lgkmcnt(0)
	s_barrier
	s_cbranch_scc1 .LBB57_3
.LBB57_7:                               ;   Parent Loop BB57_4 Depth=1
                                        ; =>  This Inner Loop Header: Depth=2
	v_add_u32_e32 v1, s31, v23
	v_cmp_gt_i32_e32 vcc, s18, v1
	s_and_b64 s[26:27], s[8:9], vcc
	v_mov_b32_e32 v0, 0
	v_mov_b32_e32 v2, 0
	v_mov_b32_e32 v3, 0
	s_and_saveexec_b64 s[0:1], s[26:27]
	s_cbranch_execz .LBB57_9
; %bb.8:                                ;   in Loop: Header=BB57_7 Depth=2
	v_ashrrev_i32_e32 v2, 31, v1
	v_mul_lo_u32 v4, s11, v1
	v_mul_lo_u32 v5, s10, v2
	v_mad_u64_u32 v[2:3], s[26:27], s10, v1, 0
	v_add3_u32 v3, v3, v5, v4
	v_lshl_add_u64 v[2:3], v[2:3], 3, v[8:9]
	flat_load_dwordx2 v[2:3], v[2:3]
.LBB57_9:                               ;   in Loop: Header=BB57_7 Depth=2
	s_or_b64 exec, exec, s[0:1]
	s_waitcnt vmcnt(0) lgkmcnt(0)
	ds_write_b64 v25, v[2:3]
	v_add_u32_e32 v2, s31, v22
	v_cndmask_b32_e64 v1, v12, v2, s[6:7]
	v_cndmask_b32_e64 v3, v2, v12, s[6:7]
	v_cmp_gt_i32_e64 s[0:1], v1, v3
	v_cmp_le_i32_e32 vcc, v1, v3
	s_nop 0
	v_cndmask_b32_e64 v1, v2, v12, s[0:1]
	v_cndmask_b32_e64 v3, v12, v2, s[0:1]
	v_max_i32_e32 v1, v1, v3
	v_cmp_gt_i32_e64 s[0:1], s18, v1
	v_mov_b32_e32 v1, 0
	s_and_saveexec_b64 s[26:27], s[0:1]
	s_cbranch_execz .LBB57_19
; %bb.10:                               ;   in Loop: Header=BB57_7 Depth=2
                                        ; implicit-def: $vgpr1
	s_and_saveexec_b64 s[0:1], vcc
	s_xor_b64 s[0:1], exec, s[0:1]
	s_cbranch_execz .LBB57_16
; %bb.11:                               ;   in Loop: Header=BB57_7 Depth=2
	v_add_u32_e32 v0, s31, v13
	v_cmp_ne_u32_e32 vcc, 0, v0
                                        ; implicit-def: $vgpr1
	s_and_saveexec_b64 s[28:29], vcc
	s_xor_b64 s[28:29], exec, s[28:29]
	s_cbranch_execz .LBB57_13
; %bb.12:                               ;   in Loop: Header=BB57_7 Depth=2
	v_ashrrev_i32_e32 v3, 31, v2
	v_lshl_add_u64 v[0:1], v[2:3], 3, v[14:15]
	flat_load_dwordx2 v[0:1], v[0:1]
.LBB57_13:                              ;   in Loop: Header=BB57_7 Depth=2
	s_andn2_saveexec_b64 s[28:29], s[28:29]
	s_cbranch_execz .LBB57_15
; %bb.14:                               ;   in Loop: Header=BB57_7 Depth=2
	s_waitcnt vmcnt(0) lgkmcnt(0)
	flat_load_dword v0, v[20:21]
	v_mov_b32_e32 v1, 0
.LBB57_15:                              ;   in Loop: Header=BB57_7 Depth=2
	s_or_b64 exec, exec, s[28:29]
                                        ; implicit-def: $vgpr2
.LBB57_16:                              ;   in Loop: Header=BB57_7 Depth=2
	s_andn2_saveexec_b64 s[0:1], s[0:1]
	s_cbranch_execz .LBB57_18
; %bb.17:                               ;   in Loop: Header=BB57_7 Depth=2
	s_waitcnt vmcnt(0) lgkmcnt(0)
	v_ashrrev_i32_e32 v0, 31, v2
	v_mul_lo_u32 v3, s15, v2
	v_mul_lo_u32 v4, s14, v0
	v_mad_u64_u32 v[0:1], s[28:29], s14, v2, 0
	v_add3_u32 v1, v1, v4, v3
	v_lshl_add_u64 v[0:1], v[0:1], 3, v[16:17]
	flat_load_dwordx2 v[0:1], v[0:1]
	s_waitcnt vmcnt(0) lgkmcnt(0)
	v_xor_b32_e32 v1, 0x80000000, v1
.LBB57_18:                              ;   in Loop: Header=BB57_7 Depth=2
	s_or_b64 exec, exec, s[0:1]
.LBB57_19:                              ;   in Loop: Header=BB57_7 Depth=2
	s_or_b64 exec, exec, s[26:27]
	s_waitcnt vmcnt(0) lgkmcnt(0)
	ds_write_b64 v27, v[0:1]
	s_waitcnt lgkmcnt(0)
	s_barrier
	s_and_saveexec_b64 s[0:1], s[24:25]
	s_cbranch_execz .LBB57_6
; %bb.20:                               ;   in Loop: Header=BB57_7 Depth=2
	ds_read2_b64 v[0:3], v26 offset1:32
	ds_read_b128 v[4:7], v24
	ds_read_b128 v[32:35], v24 offset:16
	ds_read_b128 v[36:39], v24 offset:32
	;; [unrolled: 1-line block ×3, first 2 shown]
	s_waitcnt lgkmcnt(3)
	v_mul_f32_e32 v44, v1, v5
	v_fma_f32 v44, v0, v4, -v44
	v_mul_f32_e32 v0, v0, v5
	v_fmac_f32_e32 v0, v1, v4
	v_add_f32_e32 v1, 0, v44
	ds_read2_b64 v[44:47], v26 offset0:64 offset1:96
	v_mul_f32_e32 v4, v3, v7
	v_fma_f32 v4, v2, v6, -v4
	v_mul_f32_e32 v2, v2, v7
	v_add_f32_e32 v0, 0, v0
	v_fmac_f32_e32 v2, v3, v6
	s_waitcnt lgkmcnt(0)
	v_mul_f32_e32 v3, v44, v33
	v_add_f32_e32 v0, v0, v2
	v_mul_f32_e32 v2, v45, v33
	v_fmac_f32_e32 v3, v45, v32
	v_add_f32_e32 v1, v1, v4
	v_fma_f32 v2, v44, v32, -v2
	v_add_f32_e32 v5, v0, v3
	v_mul_f32_e32 v0, v47, v35
	v_add_f32_e32 v4, v1, v2
	v_fma_f32 v6, v46, v34, -v0
	ds_read2_b64 v[0:3], v26 offset0:128 offset1:160
	v_mul_f32_e32 v7, v46, v35
	v_add_f32_e32 v4, v4, v6
	v_fmac_f32_e32 v7, v47, v34
	v_add_f32_e32 v5, v5, v7
	s_waitcnt lgkmcnt(0)
	v_mul_f32_e32 v6, v1, v37
	v_fma_f32 v6, v0, v36, -v6
	v_mul_f32_e32 v0, v0, v37
	v_fmac_f32_e32 v0, v1, v36
	v_add_f32_e32 v1, v4, v6
	v_mul_f32_e32 v4, v3, v39
	v_add_f32_e32 v0, v5, v0
	v_fma_f32 v32, v2, v38, -v4
	ds_read2_b64 v[4:7], v26 offset0:192 offset1:224
	v_mul_f32_e32 v2, v2, v39
	v_fmac_f32_e32 v2, v3, v38
	v_add_f32_e32 v0, v0, v2
	v_add_f32_e32 v1, v1, v32
	s_waitcnt lgkmcnt(0)
	v_mul_f32_e32 v3, v4, v41
	v_mul_f32_e32 v2, v5, v41
	v_fmac_f32_e32 v3, v5, v40
	v_fma_f32 v2, v4, v40, -v2
	v_add_f32_e32 v5, v0, v3
	v_mul_f32_e32 v0, v7, v43
	v_add_f32_e32 v4, v1, v2
	v_fma_f32 v36, v6, v42, -v0
	ds_read_b128 v[0:3], v24 offset:64
	ds_read2_b64 v[32:35], v29 offset1:32
	v_mul_f32_e32 v6, v6, v43
	v_fmac_f32_e32 v6, v7, v42
	v_add_f32_e32 v36, v4, v36
	v_add_f32_e32 v37, v5, v6
	s_waitcnt lgkmcnt(0)
	v_mul_f32_e32 v38, v33, v1
	v_mul_f32_e32 v1, v32, v1
	v_fma_f32 v38, v32, v0, -v38
	v_fmac_f32_e32 v1, v33, v0
	ds_read_b128 v[4:7], v24 offset:80
	v_add_f32_e32 v0, v36, v38
	v_add_f32_e32 v1, v37, v1
	ds_read2_b64 v[36:39], v29 offset0:64 offset1:96
	v_mul_f32_e32 v32, v35, v3
	v_mul_f32_e32 v3, v34, v3
	v_fma_f32 v32, v34, v2, -v32
	v_fmac_f32_e32 v3, v35, v2
	s_waitcnt lgkmcnt(0)
	v_mul_f32_e32 v2, v37, v5
	v_add_f32_e32 v0, v0, v32
	v_add_f32_e32 v1, v1, v3
	v_fma_f32 v2, v36, v4, -v2
	v_mul_f32_e32 v3, v36, v5
	v_fmac_f32_e32 v3, v37, v4
	v_add_f32_e32 v4, v0, v2
	v_mul_f32_e32 v0, v39, v7
	v_add_f32_e32 v5, v1, v3
	v_fma_f32 v36, v38, v6, -v0
	ds_read_b128 v[0:3], v24 offset:96
	ds_read2_b64 v[32:35], v29 offset0:128 offset1:160
	v_mul_f32_e32 v7, v38, v7
	v_fmac_f32_e32 v7, v39, v6
	v_add_f32_e32 v36, v4, v36
	v_add_f32_e32 v37, v5, v7
	s_waitcnt lgkmcnt(0)
	v_mul_f32_e32 v38, v33, v1
	v_mul_f32_e32 v1, v32, v1
	v_fma_f32 v38, v32, v0, -v38
	v_fmac_f32_e32 v1, v33, v0
	ds_read_b128 v[4:7], v24 offset:112
	v_add_f32_e32 v0, v36, v38
	v_add_f32_e32 v1, v37, v1
	ds_read2_b64 v[36:39], v29 offset0:192 offset1:224
	v_mul_f32_e32 v32, v35, v3
	v_mul_f32_e32 v3, v34, v3
	v_fma_f32 v32, v34, v2, -v32
	v_fmac_f32_e32 v3, v35, v2
	s_waitcnt lgkmcnt(0)
	v_mul_f32_e32 v2, v37, v5
	v_add_f32_e32 v0, v0, v32
	v_add_f32_e32 v1, v1, v3
	v_fma_f32 v2, v36, v4, -v2
	v_mul_f32_e32 v3, v36, v5
	v_fmac_f32_e32 v3, v37, v4
	v_add_f32_e32 v4, v0, v2
	v_mul_f32_e32 v0, v39, v7
	v_add_f32_e32 v5, v1, v3
	v_fma_f32 v36, v38, v6, -v0
	ds_read_b128 v[0:3], v24 offset:128
	ds_read2_b64 v[32:35], v30 offset1:32
	v_mul_f32_e32 v7, v38, v7
	v_fmac_f32_e32 v7, v39, v6
	v_add_f32_e32 v4, v4, v36
	ds_read_b128 v[36:39], v24 offset:144
	ds_read2_b64 v[40:43], v30 offset0:64 offset1:96
	s_waitcnt lgkmcnt(2)
	v_mul_f32_e32 v6, v33, v1
	v_fma_f32 v6, v32, v0, -v6
	v_mul_f32_e32 v1, v32, v1
	v_add_f32_e32 v5, v5, v7
	v_fmac_f32_e32 v1, v33, v0
	v_add_f32_e32 v0, v4, v6
	v_mul_f32_e32 v4, v35, v3
	v_mul_f32_e32 v3, v34, v3
	v_add_f32_e32 v1, v5, v1
	v_fma_f32 v4, v34, v2, -v4
	v_fmac_f32_e32 v3, v35, v2
	s_waitcnt lgkmcnt(0)
	v_mul_f32_e32 v2, v41, v37
	v_add_f32_e32 v0, v0, v4
	v_add_f32_e32 v1, v1, v3
	v_fma_f32 v2, v40, v36, -v2
	v_mul_f32_e32 v3, v40, v37
	v_fmac_f32_e32 v3, v41, v36
	v_add_f32_e32 v32, v0, v2
	v_mul_f32_e32 v0, v43, v39
	v_add_f32_e32 v33, v1, v3
	v_fma_f32 v34, v42, v38, -v0
	ds_read_b128 v[0:3], v24 offset:160
	ds_read2_b64 v[4:7], v30 offset0:128 offset1:160
	flat_load_dwordx2 v[40:41], v[18:19]
	v_mul_f32_e32 v35, v42, v39
	v_fmac_f32_e32 v35, v43, v38
	v_add_f32_e32 v36, v32, v34
	s_waitcnt lgkmcnt(0)
	v_mul_f32_e32 v38, v5, v1
	v_mul_f32_e32 v1, v4, v1
	v_add_f32_e32 v37, v33, v35
	v_fma_f32 v38, v4, v0, -v38
	v_fmac_f32_e32 v1, v5, v0
	ds_read_b128 v[32:35], v24 offset:176
	v_add_f32_e32 v0, v36, v38
	v_add_f32_e32 v1, v37, v1
	ds_read2_b64 v[36:39], v30 offset0:192 offset1:224
	v_mul_f32_e32 v4, v7, v3
	v_mul_f32_e32 v3, v6, v3
	v_fma_f32 v4, v6, v2, -v4
	v_fmac_f32_e32 v3, v7, v2
	s_waitcnt lgkmcnt(0)
	v_mul_f32_e32 v2, v37, v33
	v_add_f32_e32 v0, v0, v4
	v_add_f32_e32 v1, v1, v3
	v_fma_f32 v2, v36, v32, -v2
	v_mul_f32_e32 v3, v36, v33
	v_fmac_f32_e32 v3, v37, v32
	v_add_f32_e32 v32, v0, v2
	v_mul_f32_e32 v0, v39, v35
	v_add_f32_e32 v33, v1, v3
	v_fma_f32 v36, v38, v34, -v0
	ds_read_b128 v[0:3], v24 offset:192
	ds_read2_b64 v[4:7], v31 offset1:32
	v_mul_f32_e32 v35, v38, v35
	v_fmac_f32_e32 v35, v39, v34
	v_add_f32_e32 v36, v32, v36
	v_add_f32_e32 v37, v33, v35
	s_waitcnt lgkmcnt(0)
	v_mul_f32_e32 v38, v5, v1
	v_mul_f32_e32 v1, v4, v1
	v_fma_f32 v38, v4, v0, -v38
	v_fmac_f32_e32 v1, v5, v0
	ds_read_b128 v[32:35], v24 offset:208
	v_add_f32_e32 v0, v36, v38
	v_add_f32_e32 v1, v37, v1
	ds_read2_b64 v[36:39], v31 offset0:64 offset1:96
	v_mul_f32_e32 v4, v7, v3
	v_mul_f32_e32 v3, v6, v3
	v_fma_f32 v4, v6, v2, -v4
	v_fmac_f32_e32 v3, v7, v2
	s_waitcnt lgkmcnt(0)
	v_mul_f32_e32 v2, v37, v33
	v_add_f32_e32 v0, v0, v4
	v_add_f32_e32 v1, v1, v3
	v_fma_f32 v2, v36, v32, -v2
	v_mul_f32_e32 v3, v36, v33
	v_fmac_f32_e32 v3, v37, v32
	v_add_f32_e32 v32, v0, v2
	v_mul_f32_e32 v0, v39, v35
	v_add_f32_e32 v33, v1, v3
	v_fma_f32 v36, v38, v34, -v0
	ds_read_b128 v[0:3], v24 offset:224
	ds_read2_b64 v[4:7], v31 offset0:128 offset1:160
	v_mul_f32_e32 v35, v38, v35
	v_fmac_f32_e32 v35, v39, v34
	v_add_f32_e32 v36, v32, v36
	v_add_f32_e32 v37, v33, v35
	s_waitcnt lgkmcnt(0)
	v_mul_f32_e32 v38, v5, v1
	v_mul_f32_e32 v1, v4, v1
	v_fma_f32 v38, v4, v0, -v38
	v_fmac_f32_e32 v1, v5, v0
	ds_read_b128 v[32:35], v24 offset:240
	v_add_f32_e32 v0, v36, v38
	v_add_f32_e32 v1, v37, v1
	ds_read2_b64 v[36:39], v31 offset0:192 offset1:224
	v_mul_f32_e32 v4, v7, v3
	v_mul_f32_e32 v3, v6, v3
	v_fmac_f32_e32 v3, v7, v2
	v_fma_f32 v4, v6, v2, -v4
	v_add_f32_e32 v1, v1, v3
	s_waitcnt lgkmcnt(0)
	v_mul_f32_e32 v2, v37, v33
	v_mul_f32_e32 v3, v36, v33
	v_add_f32_e32 v0, v0, v4
	v_fma_f32 v2, v36, v32, -v2
	v_fmac_f32_e32 v3, v37, v32
	v_add_f32_e32 v0, v0, v2
	v_add_f32_e32 v1, v1, v3
	v_mul_f32_e32 v2, v39, v35
	v_mul_f32_e32 v3, v38, v35
	v_fma_f32 v2, v38, v34, -v2
	v_fmac_f32_e32 v3, v39, v34
	v_add_f32_e32 v0, v0, v2
	v_add_f32_e32 v2, v1, v3
	v_pk_mul_f32 v[2:3], s[16:17], v[2:3] op_sel_hi:[1,0]
	s_nop 0
	v_pk_fma_f32 v[4:5], s[20:21], v[0:1], v[2:3] neg_lo:[0,0,1] neg_hi:[0,0,1]
	v_pk_fma_f32 v[0:1], s[20:21], v[0:1], v[2:3] op_sel_hi:[1,0,1]
	s_nop 0
	v_mov_b32_e32 v5, v1
	s_waitcnt vmcnt(0)
	v_pk_add_f32 v[0:1], v[40:41], v[4:5]
	flat_store_dwordx2 v[18:19], v[0:1]
	s_branch .LBB57_6
.LBB57_21:
	s_endpgm
	.section	.rodata,"a",@progbits
	.p2align	6, 0x0
	.amdhsa_kernel _ZL24rocblas_symm_hemm_kernelILb1ELb1ELi32EPK19rocblas_complex_numIfEPKS3_PKPS1_EvbiiT2_T3_lllSA_lllT4_llli
		.amdhsa_group_segment_fixed_size 16384
		.amdhsa_private_segment_fixed_size 0
		.amdhsa_kernarg_size 384
		.amdhsa_user_sgpr_count 2
		.amdhsa_user_sgpr_dispatch_ptr 0
		.amdhsa_user_sgpr_queue_ptr 0
		.amdhsa_user_sgpr_kernarg_segment_ptr 1
		.amdhsa_user_sgpr_dispatch_id 0
		.amdhsa_user_sgpr_kernarg_preload_length 0
		.amdhsa_user_sgpr_kernarg_preload_offset 0
		.amdhsa_user_sgpr_private_segment_size 0
		.amdhsa_uses_dynamic_stack 0
		.amdhsa_enable_private_segment 0
		.amdhsa_system_sgpr_workgroup_id_x 1
		.amdhsa_system_sgpr_workgroup_id_y 1
		.amdhsa_system_sgpr_workgroup_id_z 1
		.amdhsa_system_sgpr_workgroup_info 0
		.amdhsa_system_vgpr_workitem_id 1
		.amdhsa_next_free_vgpr 48
		.amdhsa_next_free_sgpr 32
		.amdhsa_accum_offset 48
		.amdhsa_reserve_vcc 1
		.amdhsa_float_round_mode_32 0
		.amdhsa_float_round_mode_16_64 0
		.amdhsa_float_denorm_mode_32 3
		.amdhsa_float_denorm_mode_16_64 3
		.amdhsa_dx10_clamp 1
		.amdhsa_ieee_mode 1
		.amdhsa_fp16_overflow 0
		.amdhsa_tg_split 0
		.amdhsa_exception_fp_ieee_invalid_op 0
		.amdhsa_exception_fp_denorm_src 0
		.amdhsa_exception_fp_ieee_div_zero 0
		.amdhsa_exception_fp_ieee_overflow 0
		.amdhsa_exception_fp_ieee_underflow 0
		.amdhsa_exception_fp_ieee_inexact 0
		.amdhsa_exception_int_div_zero 0
	.end_amdhsa_kernel
	.section	.text._ZL24rocblas_symm_hemm_kernelILb1ELb1ELi32EPK19rocblas_complex_numIfEPKS3_PKPS1_EvbiiT2_T3_lllSA_lllT4_llli,"axG",@progbits,_ZL24rocblas_symm_hemm_kernelILb1ELb1ELi32EPK19rocblas_complex_numIfEPKS3_PKPS1_EvbiiT2_T3_lllSA_lllT4_llli,comdat
.Lfunc_end57:
	.size	_ZL24rocblas_symm_hemm_kernelILb1ELb1ELi32EPK19rocblas_complex_numIfEPKS3_PKPS1_EvbiiT2_T3_lllSA_lllT4_llli, .Lfunc_end57-_ZL24rocblas_symm_hemm_kernelILb1ELb1ELi32EPK19rocblas_complex_numIfEPKS3_PKPS1_EvbiiT2_T3_lllSA_lllT4_llli
                                        ; -- End function
	.set _ZL24rocblas_symm_hemm_kernelILb1ELb1ELi32EPK19rocblas_complex_numIfEPKS3_PKPS1_EvbiiT2_T3_lllSA_lllT4_llli.num_vgpr, 48
	.set _ZL24rocblas_symm_hemm_kernelILb1ELb1ELi32EPK19rocblas_complex_numIfEPKS3_PKPS1_EvbiiT2_T3_lllSA_lllT4_llli.num_agpr, 0
	.set _ZL24rocblas_symm_hemm_kernelILb1ELb1ELi32EPK19rocblas_complex_numIfEPKS3_PKPS1_EvbiiT2_T3_lllSA_lllT4_llli.numbered_sgpr, 32
	.set _ZL24rocblas_symm_hemm_kernelILb1ELb1ELi32EPK19rocblas_complex_numIfEPKS3_PKPS1_EvbiiT2_T3_lllSA_lllT4_llli.num_named_barrier, 0
	.set _ZL24rocblas_symm_hemm_kernelILb1ELb1ELi32EPK19rocblas_complex_numIfEPKS3_PKPS1_EvbiiT2_T3_lllSA_lllT4_llli.private_seg_size, 0
	.set _ZL24rocblas_symm_hemm_kernelILb1ELb1ELi32EPK19rocblas_complex_numIfEPKS3_PKPS1_EvbiiT2_T3_lllSA_lllT4_llli.uses_vcc, 1
	.set _ZL24rocblas_symm_hemm_kernelILb1ELb1ELi32EPK19rocblas_complex_numIfEPKS3_PKPS1_EvbiiT2_T3_lllSA_lllT4_llli.uses_flat_scratch, 0
	.set _ZL24rocblas_symm_hemm_kernelILb1ELb1ELi32EPK19rocblas_complex_numIfEPKS3_PKPS1_EvbiiT2_T3_lllSA_lllT4_llli.has_dyn_sized_stack, 0
	.set _ZL24rocblas_symm_hemm_kernelILb1ELb1ELi32EPK19rocblas_complex_numIfEPKS3_PKPS1_EvbiiT2_T3_lllSA_lllT4_llli.has_recursion, 0
	.set _ZL24rocblas_symm_hemm_kernelILb1ELb1ELi32EPK19rocblas_complex_numIfEPKS3_PKPS1_EvbiiT2_T3_lllSA_lllT4_llli.has_indirect_call, 0
	.section	.AMDGPU.csdata,"",@progbits
; Kernel info:
; codeLenInByte = 2244
; TotalNumSgprs: 38
; NumVgprs: 48
; NumAgprs: 0
; TotalNumVgprs: 48
; ScratchSize: 0
; MemoryBound: 0
; FloatMode: 240
; IeeeMode: 1
; LDSByteSize: 16384 bytes/workgroup (compile time only)
; SGPRBlocks: 4
; VGPRBlocks: 5
; NumSGPRsForWavesPerEU: 38
; NumVGPRsForWavesPerEU: 48
; AccumOffset: 48
; Occupancy: 8
; WaveLimiterHint : 1
; COMPUTE_PGM_RSRC2:SCRATCH_EN: 0
; COMPUTE_PGM_RSRC2:USER_SGPR: 2
; COMPUTE_PGM_RSRC2:TRAP_HANDLER: 0
; COMPUTE_PGM_RSRC2:TGID_X_EN: 1
; COMPUTE_PGM_RSRC2:TGID_Y_EN: 1
; COMPUTE_PGM_RSRC2:TGID_Z_EN: 1
; COMPUTE_PGM_RSRC2:TIDIG_COMP_CNT: 1
; COMPUTE_PGM_RSRC3_GFX90A:ACCUM_OFFSET: 11
; COMPUTE_PGM_RSRC3_GFX90A:TG_SPLIT: 0
	.section	.text._ZL24rocblas_symm_hemm_kernelILb1ELb0ELi32E19rocblas_complex_numIfEPKPKS1_PKPS1_EvbiiT2_T3_lllSA_lllT4_llli,"axG",@progbits,_ZL24rocblas_symm_hemm_kernelILb1ELb0ELi32E19rocblas_complex_numIfEPKPKS1_PKPS1_EvbiiT2_T3_lllSA_lllT4_llli,comdat
	.globl	_ZL24rocblas_symm_hemm_kernelILb1ELb0ELi32E19rocblas_complex_numIfEPKPKS1_PKPS1_EvbiiT2_T3_lllSA_lllT4_llli ; -- Begin function _ZL24rocblas_symm_hemm_kernelILb1ELb0ELi32E19rocblas_complex_numIfEPKPKS1_PKPS1_EvbiiT2_T3_lllSA_lllT4_llli
	.p2align	8
	.type	_ZL24rocblas_symm_hemm_kernelILb1ELb0ELi32E19rocblas_complex_numIfEPKPKS1_PKPS1_EvbiiT2_T3_lllSA_lllT4_llli,@function
_ZL24rocblas_symm_hemm_kernelILb1ELb0ELi32E19rocblas_complex_numIfEPKPKS1_PKPS1_EvbiiT2_T3_lllSA_lllT4_llli: ; @_ZL24rocblas_symm_hemm_kernelILb1ELb0ELi32E19rocblas_complex_numIfEPKPKS1_PKPS1_EvbiiT2_T3_lllSA_lllT4_llli
; %bb.0:
	s_load_dwordx4 s[12:15], s[0:1], 0x0
	s_load_dword s17, s[0:1], 0x10
	s_waitcnt lgkmcnt(0)
	v_cmp_eq_f32_e64 s[6:7], s15, 0
	v_cmp_eq_f32_e64 s[8:9], s17, 0
	s_and_b64 s[6:7], s[6:7], s[8:9]
	s_and_b64 vcc, exec, s[6:7]
	s_cbranch_vccnz .LBB58_21
; %bb.1:
	s_add_i32 s5, s14, -1
	s_ashr_i32 s6, s5, 31
	s_lshr_b32 s6, s6, 27
	s_add_i32 s5, s5, s6
	s_ashr_i32 s33, s5, 5
	s_cmp_gt_i32 s3, s33
	s_cbranch_scc1 .LBB58_21
; %bb.2:
	s_load_dwordx4 s[8:11], s[0:1], 0x18
	s_load_dwordx2 s[18:19], s[0:1], 0x28
	s_load_dwordx4 s[24:27], s[0:1], 0x38
	s_load_dwordx2 s[20:21], s[0:1], 0x48
	s_mov_b32 s5, 0
	s_lshl_b64 s[4:5], s[4:5], 3
	s_waitcnt lgkmcnt(0)
	s_add_u32 s6, s8, s4
	s_addc_u32 s7, s9, s5
	s_add_u32 s8, s24, s4
	s_addc_u32 s9, s25, s5
	s_load_dwordx2 s[24:25], s[8:9], 0x0
	s_load_dwordx2 s[22:23], s[0:1], 0x68
	s_load_dwordx4 s[28:31], s[0:1], 0x58
	s_lshl_b64 s[8:9], s[26:27], 3
	v_and_b32_e32 v22, 0x3ff, v0
	s_waitcnt lgkmcnt(0)
	s_add_u32 s24, s24, s8
	s_addc_u32 s25, s25, s9
	s_add_u32 s4, s28, s4
	s_addc_u32 s5, s29, s5
	s_load_dwordx2 s[8:9], s[4:5], 0x0
	s_load_dwordx2 s[26:27], s[6:7], 0x0
	s_bitcmp1_b32 s12, 0
	s_cselect_b64 s[6:7], -1, 0
	s_lshl_b64 s[4:5], s[30:31], 3
	s_waitcnt lgkmcnt(0)
	s_add_u32 s4, s8, s4
	s_addc_u32 s5, s9, s5
	s_lshl_b64 s[8:9], s[10:11], 3
	s_add_u32 s8, s26, s8
	v_lshl_add_u32 v8, s2, 5, v22
	s_addc_u32 s9, s27, s9
	v_ashrrev_i32_e32 v9, 31, v8
	s_load_dword s2, s[0:1], 0x84
	v_bfe_u32 v23, v0, 10, 10
	s_cmp_gt_i32 s13, 0
	v_mul_lo_u32 v4, s18, v9
	v_mul_lo_u32 v5, s19, v8
	v_mad_u64_u32 v[2:3], s[10:11], s18, v8, 0
	v_lshlrev_b64 v[0:1], 3, v[8:9]
	v_add3_u32 v3, v3, v4, v5
	v_lshlrev_b32_e32 v4, 3, v23
	s_cselect_b64 s[0:1], -1, 0
	v_lshl_add_u64 v[10:11], s[8:9], 0, v[0:1]
	v_lshlrev_b64 v[2:3], 3, v[2:3]
	v_lshlrev_b32_e32 v9, 8, v22
	v_or_b32_e32 v25, 0x2000, v4
	v_lshl_add_u64 v[14:15], s[4:5], 0, v[0:1]
	v_cndmask_b32_e64 v0, 0, 1, s[0:1]
	s_mov_b32 s16, s15
	v_lshl_add_u64 v[12:13], s[8:9], 0, v[2:3]
	v_add_u32_e32 v24, v9, v4
	v_add_u32_e32 v26, v25, v9
	v_cmp_gt_i32_e64 s[8:9], s13, v8
	v_lshl_add_u64 v[16:17], v[10:11], 0, v[2:3]
	s_mov_b32 s26, s17
	s_mov_b32 s27, s15
	v_cmp_ne_u32_e64 s[4:5], 1, v0
	v_add_u32_e32 v27, 0x800, v25
	v_add_u32_e32 v28, 0x1000, v25
	;; [unrolled: 1-line block ×3, first 2 shown]
	s_branch .LBB58_4
.LBB58_3:                               ;   in Loop: Header=BB58_4 Depth=1
	s_waitcnt lgkmcnt(0)
	s_add_i32 s3, s3, s2
	s_cmp_gt_i32 s3, s33
	s_cbranch_scc1 .LBB58_21
.LBB58_4:                               ; =>This Loop Header: Depth=1
                                        ;     Child Loop BB58_7 Depth 2
	s_and_b64 vcc, exec, s[4:5]
	s_cbranch_vccnz .LBB58_3
; %bb.5:                                ;   in Loop: Header=BB58_4 Depth=1
	v_lshl_add_u32 v2, s3, 5, v23
	v_ashrrev_i32_e32 v3, 31, v2
	v_mul_lo_u32 v4, s20, v3
	v_mul_lo_u32 v5, s21, v2
	v_mad_u64_u32 v[0:1], s[0:1], s20, v2, 0
	v_add3_u32 v1, v1, v4, v5
	v_lshl_add_u64 v[18:19], v[0:1], 3, s[24:25]
	v_mul_lo_u32 v3, s22, v3
	v_mul_lo_u32 v4, s23, v2
	v_mad_u64_u32 v[0:1], s[0:1], s22, v2, 0
	v_cmp_gt_i32_e32 vcc, s14, v2
	v_add3_u32 v1, v1, v3, v4
	s_and_b64 s[28:29], s[8:9], vcc
	v_lshl_add_u64 v[20:21], v[0:1], 3, v[14:15]
	s_mov_b32 s12, 0
	s_branch .LBB58_7
.LBB58_6:                               ;   in Loop: Header=BB58_7 Depth=2
	s_or_b64 exec, exec, s[0:1]
	s_add_i32 s12, s12, 32
	s_cmp_ge_i32 s12, s13
	s_waitcnt lgkmcnt(0)
	s_barrier
	s_cbranch_scc1 .LBB58_3
.LBB58_7:                               ;   Parent Loop BB58_4 Depth=1
                                        ; =>  This Inner Loop Header: Depth=2
	v_add_u32_e32 v4, s12, v23
	v_cndmask_b32_e64 v0, v4, v8, s[6:7]
	v_cndmask_b32_e64 v1, v8, v4, s[6:7]
	v_cmp_gt_i32_e64 s[10:11], v0, v1
	v_cmp_le_i32_e64 s[0:1], v0, v1
	v_mov_b32_e32 v2, 0
	v_cndmask_b32_e64 v0, v8, v4, s[10:11]
	v_cndmask_b32_e64 v1, v4, v8, s[10:11]
	v_max_i32_e32 v0, v0, v1
	v_cmp_gt_i32_e64 s[10:11], s13, v0
	v_mov_b32_e32 v0, 0
	v_mov_b32_e32 v3, 0
	s_and_saveexec_b64 s[30:31], s[10:11]
	s_cbranch_execz .LBB58_17
; %bb.8:                                ;   in Loop: Header=BB58_7 Depth=2
                                        ; implicit-def: $vgpr3
	s_and_saveexec_b64 s[10:11], s[0:1]
	s_xor_b64 s[10:11], exec, s[10:11]
	s_cbranch_execz .LBB58_14
; %bb.9:                                ;   in Loop: Header=BB58_7 Depth=2
	v_cmp_ne_u32_e64 s[0:1], v4, v8
                                        ; implicit-def: $vgpr3
	s_and_saveexec_b64 s[34:35], s[0:1]
	s_xor_b64 s[0:1], exec, s[34:35]
	s_cbranch_execz .LBB58_11
; %bb.10:                               ;   in Loop: Header=BB58_7 Depth=2
	v_ashrrev_i32_e32 v1, 31, v4
	v_mul_lo_u32 v5, s19, v4
	v_mul_lo_u32 v1, s18, v1
	v_mad_u64_u32 v[2:3], s[34:35], s18, v4, 0
	v_add3_u32 v3, v3, v1, v5
	v_lshl_add_u64 v[2:3], v[2:3], 3, v[10:11]
	flat_load_dwordx2 v[2:3], v[2:3]
.LBB58_11:                              ;   in Loop: Header=BB58_7 Depth=2
	s_andn2_saveexec_b64 s[0:1], s[0:1]
	s_cbranch_execz .LBB58_13
; %bb.12:                               ;   in Loop: Header=BB58_7 Depth=2
	s_waitcnt vmcnt(0) lgkmcnt(0)
	flat_load_dword v2, v[16:17]
	v_mov_b32_e32 v3, 0
.LBB58_13:                              ;   in Loop: Header=BB58_7 Depth=2
	s_or_b64 exec, exec, s[0:1]
                                        ; implicit-def: $vgpr4
.LBB58_14:                              ;   in Loop: Header=BB58_7 Depth=2
	s_andn2_saveexec_b64 s[0:1], s[10:11]
	s_cbranch_execz .LBB58_16
; %bb.15:                               ;   in Loop: Header=BB58_7 Depth=2
	v_ashrrev_i32_e32 v5, 31, v4
	s_waitcnt vmcnt(0) lgkmcnt(0)
	v_lshl_add_u64 v[2:3], v[4:5], 3, v[12:13]
	flat_load_dwordx2 v[2:3], v[2:3]
	s_waitcnt vmcnt(0) lgkmcnt(0)
	v_xor_b32_e32 v3, 0x80000000, v3
.LBB58_16:                              ;   in Loop: Header=BB58_7 Depth=2
	s_or_b64 exec, exec, s[0:1]
.LBB58_17:                              ;   in Loop: Header=BB58_7 Depth=2
	s_or_b64 exec, exec, s[30:31]
	s_waitcnt vmcnt(0) lgkmcnt(0)
	ds_write_b64 v24, v[2:3]
	v_add_u32_e32 v2, s12, v22
	v_cmp_gt_i32_e64 s[0:1], s13, v2
	s_and_b64 s[10:11], s[0:1], vcc
	v_mov_b32_e32 v1, 0
	s_and_saveexec_b64 s[0:1], s[10:11]
	s_cbranch_execz .LBB58_19
; %bb.18:                               ;   in Loop: Header=BB58_7 Depth=2
	v_ashrrev_i32_e32 v3, 31, v2
	v_lshl_add_u64 v[0:1], v[2:3], 3, v[18:19]
	flat_load_dwordx2 v[0:1], v[0:1]
.LBB58_19:                              ;   in Loop: Header=BB58_7 Depth=2
	s_or_b64 exec, exec, s[0:1]
	s_waitcnt vmcnt(0) lgkmcnt(0)
	ds_write_b64 v26, v[0:1]
	s_waitcnt lgkmcnt(0)
	s_barrier
	s_and_saveexec_b64 s[0:1], s[28:29]
	s_cbranch_execz .LBB58_6
; %bb.20:                               ;   in Loop: Header=BB58_7 Depth=2
	ds_read2_b64 v[0:3], v25 offset1:32
	ds_read_b128 v[4:7], v9
	ds_read_b128 v[30:33], v9 offset:16
	ds_read_b128 v[34:37], v9 offset:32
	;; [unrolled: 1-line block ×3, first 2 shown]
	s_waitcnt lgkmcnt(3)
	v_mul_f32_e32 v42, v1, v5
	v_fma_f32 v42, v0, v4, -v42
	v_mul_f32_e32 v0, v0, v5
	v_fmac_f32_e32 v0, v1, v4
	v_add_f32_e32 v1, 0, v42
	ds_read2_b64 v[42:45], v25 offset0:64 offset1:96
	v_mul_f32_e32 v4, v3, v7
	v_fma_f32 v4, v2, v6, -v4
	v_mul_f32_e32 v2, v2, v7
	v_add_f32_e32 v0, 0, v0
	v_fmac_f32_e32 v2, v3, v6
	s_waitcnt lgkmcnt(0)
	v_mul_f32_e32 v3, v42, v31
	v_add_f32_e32 v0, v0, v2
	v_mul_f32_e32 v2, v43, v31
	v_fmac_f32_e32 v3, v43, v30
	v_add_f32_e32 v1, v1, v4
	v_fma_f32 v2, v42, v30, -v2
	v_add_f32_e32 v5, v0, v3
	v_mul_f32_e32 v0, v45, v33
	v_add_f32_e32 v4, v1, v2
	v_fma_f32 v6, v44, v32, -v0
	ds_read2_b64 v[0:3], v25 offset0:128 offset1:160
	v_mul_f32_e32 v7, v44, v33
	v_add_f32_e32 v4, v4, v6
	v_fmac_f32_e32 v7, v45, v32
	v_add_f32_e32 v5, v5, v7
	s_waitcnt lgkmcnt(0)
	v_mul_f32_e32 v6, v1, v35
	v_fma_f32 v6, v0, v34, -v6
	v_mul_f32_e32 v0, v0, v35
	v_fmac_f32_e32 v0, v1, v34
	v_add_f32_e32 v1, v4, v6
	v_mul_f32_e32 v4, v3, v37
	v_add_f32_e32 v0, v5, v0
	v_fma_f32 v30, v2, v36, -v4
	ds_read2_b64 v[4:7], v25 offset0:192 offset1:224
	v_mul_f32_e32 v2, v2, v37
	v_fmac_f32_e32 v2, v3, v36
	v_add_f32_e32 v0, v0, v2
	v_add_f32_e32 v1, v1, v30
	s_waitcnt lgkmcnt(0)
	v_mul_f32_e32 v3, v4, v39
	v_mul_f32_e32 v2, v5, v39
	v_fmac_f32_e32 v3, v5, v38
	v_fma_f32 v2, v4, v38, -v2
	v_add_f32_e32 v5, v0, v3
	v_mul_f32_e32 v0, v7, v41
	v_add_f32_e32 v4, v1, v2
	v_fma_f32 v34, v6, v40, -v0
	ds_read_b128 v[0:3], v9 offset:64
	ds_read2_b64 v[30:33], v27 offset1:32
	v_mul_f32_e32 v6, v6, v41
	v_fmac_f32_e32 v6, v7, v40
	v_add_f32_e32 v34, v4, v34
	v_add_f32_e32 v35, v5, v6
	s_waitcnt lgkmcnt(0)
	v_mul_f32_e32 v36, v31, v1
	v_mul_f32_e32 v1, v30, v1
	v_fma_f32 v36, v30, v0, -v36
	v_fmac_f32_e32 v1, v31, v0
	ds_read_b128 v[4:7], v9 offset:80
	v_add_f32_e32 v0, v34, v36
	v_add_f32_e32 v1, v35, v1
	ds_read2_b64 v[34:37], v27 offset0:64 offset1:96
	v_mul_f32_e32 v30, v33, v3
	v_mul_f32_e32 v3, v32, v3
	v_fma_f32 v30, v32, v2, -v30
	v_fmac_f32_e32 v3, v33, v2
	s_waitcnt lgkmcnt(0)
	v_mul_f32_e32 v2, v35, v5
	v_add_f32_e32 v0, v0, v30
	v_add_f32_e32 v1, v1, v3
	v_fma_f32 v2, v34, v4, -v2
	v_mul_f32_e32 v3, v34, v5
	v_fmac_f32_e32 v3, v35, v4
	v_add_f32_e32 v4, v0, v2
	v_mul_f32_e32 v0, v37, v7
	v_add_f32_e32 v5, v1, v3
	v_fma_f32 v34, v36, v6, -v0
	ds_read_b128 v[0:3], v9 offset:96
	ds_read2_b64 v[30:33], v27 offset0:128 offset1:160
	v_mul_f32_e32 v7, v36, v7
	v_fmac_f32_e32 v7, v37, v6
	v_add_f32_e32 v34, v4, v34
	v_add_f32_e32 v35, v5, v7
	s_waitcnt lgkmcnt(0)
	v_mul_f32_e32 v36, v31, v1
	v_mul_f32_e32 v1, v30, v1
	v_fma_f32 v36, v30, v0, -v36
	v_fmac_f32_e32 v1, v31, v0
	ds_read_b128 v[4:7], v9 offset:112
	v_add_f32_e32 v0, v34, v36
	v_add_f32_e32 v1, v35, v1
	ds_read2_b64 v[34:37], v27 offset0:192 offset1:224
	v_mul_f32_e32 v30, v33, v3
	v_mul_f32_e32 v3, v32, v3
	v_fma_f32 v30, v32, v2, -v30
	v_fmac_f32_e32 v3, v33, v2
	s_waitcnt lgkmcnt(0)
	v_mul_f32_e32 v2, v35, v5
	v_add_f32_e32 v0, v0, v30
	v_add_f32_e32 v1, v1, v3
	v_fma_f32 v2, v34, v4, -v2
	v_mul_f32_e32 v3, v34, v5
	v_fmac_f32_e32 v3, v35, v4
	v_add_f32_e32 v4, v0, v2
	v_mul_f32_e32 v0, v37, v7
	v_add_f32_e32 v5, v1, v3
	v_fma_f32 v34, v36, v6, -v0
	ds_read_b128 v[0:3], v9 offset:128
	ds_read2_b64 v[30:33], v28 offset1:32
	v_mul_f32_e32 v7, v36, v7
	v_fmac_f32_e32 v7, v37, v6
	v_add_f32_e32 v4, v4, v34
	ds_read_b128 v[34:37], v9 offset:144
	ds_read2_b64 v[38:41], v28 offset0:64 offset1:96
	s_waitcnt lgkmcnt(2)
	v_mul_f32_e32 v6, v31, v1
	v_fma_f32 v6, v30, v0, -v6
	v_mul_f32_e32 v1, v30, v1
	v_add_f32_e32 v5, v5, v7
	v_fmac_f32_e32 v1, v31, v0
	v_add_f32_e32 v0, v4, v6
	v_mul_f32_e32 v4, v33, v3
	v_mul_f32_e32 v3, v32, v3
	v_add_f32_e32 v1, v5, v1
	v_fma_f32 v4, v32, v2, -v4
	v_fmac_f32_e32 v3, v33, v2
	s_waitcnt lgkmcnt(0)
	v_mul_f32_e32 v2, v39, v35
	v_add_f32_e32 v0, v0, v4
	v_add_f32_e32 v1, v1, v3
	v_fma_f32 v2, v38, v34, -v2
	v_mul_f32_e32 v3, v38, v35
	v_fmac_f32_e32 v3, v39, v34
	v_add_f32_e32 v30, v0, v2
	v_mul_f32_e32 v0, v41, v37
	v_add_f32_e32 v31, v1, v3
	v_fma_f32 v32, v40, v36, -v0
	ds_read_b128 v[0:3], v9 offset:160
	ds_read2_b64 v[4:7], v28 offset0:128 offset1:160
	flat_load_dwordx2 v[38:39], v[20:21]
	v_mul_f32_e32 v33, v40, v37
	v_fmac_f32_e32 v33, v41, v36
	v_add_f32_e32 v34, v30, v32
	s_waitcnt lgkmcnt(0)
	v_mul_f32_e32 v36, v5, v1
	v_mul_f32_e32 v1, v4, v1
	v_add_f32_e32 v35, v31, v33
	v_fma_f32 v36, v4, v0, -v36
	v_fmac_f32_e32 v1, v5, v0
	ds_read_b128 v[30:33], v9 offset:176
	v_add_f32_e32 v0, v34, v36
	v_add_f32_e32 v1, v35, v1
	ds_read2_b64 v[34:37], v28 offset0:192 offset1:224
	v_mul_f32_e32 v4, v7, v3
	v_mul_f32_e32 v3, v6, v3
	v_fma_f32 v4, v6, v2, -v4
	v_fmac_f32_e32 v3, v7, v2
	s_waitcnt lgkmcnt(0)
	v_mul_f32_e32 v2, v35, v31
	v_add_f32_e32 v0, v0, v4
	v_add_f32_e32 v1, v1, v3
	v_fma_f32 v2, v34, v30, -v2
	v_mul_f32_e32 v3, v34, v31
	v_fmac_f32_e32 v3, v35, v30
	v_add_f32_e32 v30, v0, v2
	v_mul_f32_e32 v0, v37, v33
	v_add_f32_e32 v31, v1, v3
	v_fma_f32 v34, v36, v32, -v0
	ds_read_b128 v[0:3], v9 offset:192
	ds_read2_b64 v[4:7], v29 offset1:32
	v_mul_f32_e32 v33, v36, v33
	v_fmac_f32_e32 v33, v37, v32
	v_add_f32_e32 v34, v30, v34
	v_add_f32_e32 v35, v31, v33
	s_waitcnt lgkmcnt(0)
	v_mul_f32_e32 v36, v5, v1
	v_mul_f32_e32 v1, v4, v1
	v_fma_f32 v36, v4, v0, -v36
	v_fmac_f32_e32 v1, v5, v0
	ds_read_b128 v[30:33], v9 offset:208
	v_add_f32_e32 v0, v34, v36
	v_add_f32_e32 v1, v35, v1
	ds_read2_b64 v[34:37], v29 offset0:64 offset1:96
	v_mul_f32_e32 v4, v7, v3
	v_mul_f32_e32 v3, v6, v3
	v_fma_f32 v4, v6, v2, -v4
	v_fmac_f32_e32 v3, v7, v2
	s_waitcnt lgkmcnt(0)
	v_mul_f32_e32 v2, v35, v31
	v_add_f32_e32 v0, v0, v4
	v_add_f32_e32 v1, v1, v3
	v_fma_f32 v2, v34, v30, -v2
	v_mul_f32_e32 v3, v34, v31
	v_fmac_f32_e32 v3, v35, v30
	v_add_f32_e32 v30, v0, v2
	v_mul_f32_e32 v0, v37, v33
	v_add_f32_e32 v31, v1, v3
	v_fma_f32 v34, v36, v32, -v0
	ds_read_b128 v[0:3], v9 offset:224
	ds_read2_b64 v[4:7], v29 offset0:128 offset1:160
	v_mul_f32_e32 v33, v36, v33
	v_fmac_f32_e32 v33, v37, v32
	v_add_f32_e32 v34, v30, v34
	v_add_f32_e32 v35, v31, v33
	s_waitcnt lgkmcnt(0)
	v_mul_f32_e32 v36, v5, v1
	v_mul_f32_e32 v1, v4, v1
	v_fma_f32 v36, v4, v0, -v36
	v_fmac_f32_e32 v1, v5, v0
	ds_read_b128 v[30:33], v9 offset:240
	v_add_f32_e32 v0, v34, v36
	v_add_f32_e32 v1, v35, v1
	ds_read2_b64 v[34:37], v29 offset0:192 offset1:224
	v_mul_f32_e32 v4, v7, v3
	v_mul_f32_e32 v3, v6, v3
	v_fmac_f32_e32 v3, v7, v2
	v_fma_f32 v4, v6, v2, -v4
	v_add_f32_e32 v1, v1, v3
	s_waitcnt lgkmcnt(0)
	v_mul_f32_e32 v2, v35, v31
	v_mul_f32_e32 v3, v34, v31
	v_add_f32_e32 v0, v0, v4
	v_fma_f32 v2, v34, v30, -v2
	v_fmac_f32_e32 v3, v35, v30
	v_add_f32_e32 v0, v0, v2
	v_add_f32_e32 v1, v1, v3
	v_mul_f32_e32 v2, v37, v33
	v_mul_f32_e32 v3, v36, v33
	v_fma_f32 v2, v36, v32, -v2
	v_fmac_f32_e32 v3, v37, v32
	v_add_f32_e32 v0, v0, v2
	v_add_f32_e32 v2, v1, v3
	v_pk_mul_f32 v[2:3], s[26:27], v[2:3] op_sel_hi:[1,0]
	s_nop 0
	v_pk_fma_f32 v[4:5], s[16:17], v[0:1], v[2:3] neg_lo:[0,0,1] neg_hi:[0,0,1]
	v_pk_fma_f32 v[0:1], s[16:17], v[0:1], v[2:3] op_sel_hi:[1,0,1]
	s_nop 0
	v_mov_b32_e32 v5, v1
	s_waitcnt vmcnt(0)
	v_pk_add_f32 v[0:1], v[38:39], v[4:5]
	flat_store_dwordx2 v[20:21], v[0:1]
	s_branch .LBB58_6
.LBB58_21:
	s_endpgm
	.section	.rodata,"a",@progbits
	.p2align	6, 0x0
	.amdhsa_kernel _ZL24rocblas_symm_hemm_kernelILb1ELb0ELi32E19rocblas_complex_numIfEPKPKS1_PKPS1_EvbiiT2_T3_lllSA_lllT4_llli
		.amdhsa_group_segment_fixed_size 16384
		.amdhsa_private_segment_fixed_size 0
		.amdhsa_kernarg_size 384
		.amdhsa_user_sgpr_count 2
		.amdhsa_user_sgpr_dispatch_ptr 0
		.amdhsa_user_sgpr_queue_ptr 0
		.amdhsa_user_sgpr_kernarg_segment_ptr 1
		.amdhsa_user_sgpr_dispatch_id 0
		.amdhsa_user_sgpr_kernarg_preload_length 0
		.amdhsa_user_sgpr_kernarg_preload_offset 0
		.amdhsa_user_sgpr_private_segment_size 0
		.amdhsa_uses_dynamic_stack 0
		.amdhsa_enable_private_segment 0
		.amdhsa_system_sgpr_workgroup_id_x 1
		.amdhsa_system_sgpr_workgroup_id_y 1
		.amdhsa_system_sgpr_workgroup_id_z 1
		.amdhsa_system_sgpr_workgroup_info 0
		.amdhsa_system_vgpr_workitem_id 1
		.amdhsa_next_free_vgpr 46
		.amdhsa_next_free_sgpr 36
		.amdhsa_accum_offset 48
		.amdhsa_reserve_vcc 1
		.amdhsa_float_round_mode_32 0
		.amdhsa_float_round_mode_16_64 0
		.amdhsa_float_denorm_mode_32 3
		.amdhsa_float_denorm_mode_16_64 3
		.amdhsa_dx10_clamp 1
		.amdhsa_ieee_mode 1
		.amdhsa_fp16_overflow 0
		.amdhsa_tg_split 0
		.amdhsa_exception_fp_ieee_invalid_op 0
		.amdhsa_exception_fp_denorm_src 0
		.amdhsa_exception_fp_ieee_div_zero 0
		.amdhsa_exception_fp_ieee_overflow 0
		.amdhsa_exception_fp_ieee_underflow 0
		.amdhsa_exception_fp_ieee_inexact 0
		.amdhsa_exception_int_div_zero 0
	.end_amdhsa_kernel
	.section	.text._ZL24rocblas_symm_hemm_kernelILb1ELb0ELi32E19rocblas_complex_numIfEPKPKS1_PKPS1_EvbiiT2_T3_lllSA_lllT4_llli,"axG",@progbits,_ZL24rocblas_symm_hemm_kernelILb1ELb0ELi32E19rocblas_complex_numIfEPKPKS1_PKPS1_EvbiiT2_T3_lllSA_lllT4_llli,comdat
.Lfunc_end58:
	.size	_ZL24rocblas_symm_hemm_kernelILb1ELb0ELi32E19rocblas_complex_numIfEPKPKS1_PKPS1_EvbiiT2_T3_lllSA_lllT4_llli, .Lfunc_end58-_ZL24rocblas_symm_hemm_kernelILb1ELb0ELi32E19rocblas_complex_numIfEPKPKS1_PKPS1_EvbiiT2_T3_lllSA_lllT4_llli
                                        ; -- End function
	.set _ZL24rocblas_symm_hemm_kernelILb1ELb0ELi32E19rocblas_complex_numIfEPKPKS1_PKPS1_EvbiiT2_T3_lllSA_lllT4_llli.num_vgpr, 46
	.set _ZL24rocblas_symm_hemm_kernelILb1ELb0ELi32E19rocblas_complex_numIfEPKPKS1_PKPS1_EvbiiT2_T3_lllSA_lllT4_llli.num_agpr, 0
	.set _ZL24rocblas_symm_hemm_kernelILb1ELb0ELi32E19rocblas_complex_numIfEPKPKS1_PKPS1_EvbiiT2_T3_lllSA_lllT4_llli.numbered_sgpr, 36
	.set _ZL24rocblas_symm_hemm_kernelILb1ELb0ELi32E19rocblas_complex_numIfEPKPKS1_PKPS1_EvbiiT2_T3_lllSA_lllT4_llli.num_named_barrier, 0
	.set _ZL24rocblas_symm_hemm_kernelILb1ELb0ELi32E19rocblas_complex_numIfEPKPKS1_PKPS1_EvbiiT2_T3_lllSA_lllT4_llli.private_seg_size, 0
	.set _ZL24rocblas_symm_hemm_kernelILb1ELb0ELi32E19rocblas_complex_numIfEPKPKS1_PKPS1_EvbiiT2_T3_lllSA_lllT4_llli.uses_vcc, 1
	.set _ZL24rocblas_symm_hemm_kernelILb1ELb0ELi32E19rocblas_complex_numIfEPKPKS1_PKPS1_EvbiiT2_T3_lllSA_lllT4_llli.uses_flat_scratch, 0
	.set _ZL24rocblas_symm_hemm_kernelILb1ELb0ELi32E19rocblas_complex_numIfEPKPKS1_PKPS1_EvbiiT2_T3_lllSA_lllT4_llli.has_dyn_sized_stack, 0
	.set _ZL24rocblas_symm_hemm_kernelILb1ELb0ELi32E19rocblas_complex_numIfEPKPKS1_PKPS1_EvbiiT2_T3_lllSA_lllT4_llli.has_recursion, 0
	.set _ZL24rocblas_symm_hemm_kernelILb1ELb0ELi32E19rocblas_complex_numIfEPKPKS1_PKPS1_EvbiiT2_T3_lllSA_lllT4_llli.has_indirect_call, 0
	.section	.AMDGPU.csdata,"",@progbits
; Kernel info:
; codeLenInByte = 2232
; TotalNumSgprs: 42
; NumVgprs: 46
; NumAgprs: 0
; TotalNumVgprs: 46
; ScratchSize: 0
; MemoryBound: 0
; FloatMode: 240
; IeeeMode: 1
; LDSByteSize: 16384 bytes/workgroup (compile time only)
; SGPRBlocks: 5
; VGPRBlocks: 5
; NumSGPRsForWavesPerEU: 42
; NumVGPRsForWavesPerEU: 46
; AccumOffset: 48
; Occupancy: 8
; WaveLimiterHint : 1
; COMPUTE_PGM_RSRC2:SCRATCH_EN: 0
; COMPUTE_PGM_RSRC2:USER_SGPR: 2
; COMPUTE_PGM_RSRC2:TRAP_HANDLER: 0
; COMPUTE_PGM_RSRC2:TGID_X_EN: 1
; COMPUTE_PGM_RSRC2:TGID_Y_EN: 1
; COMPUTE_PGM_RSRC2:TGID_Z_EN: 1
; COMPUTE_PGM_RSRC2:TIDIG_COMP_CNT: 1
; COMPUTE_PGM_RSRC3_GFX90A:ACCUM_OFFSET: 11
; COMPUTE_PGM_RSRC3_GFX90A:TG_SPLIT: 0
	.section	.text._ZL24rocblas_symm_hemm_kernelILb1ELb1ELi32E19rocblas_complex_numIfEPKPKS1_PKPS1_EvbiiT2_T3_lllSA_lllT4_llli,"axG",@progbits,_ZL24rocblas_symm_hemm_kernelILb1ELb1ELi32E19rocblas_complex_numIfEPKPKS1_PKPS1_EvbiiT2_T3_lllSA_lllT4_llli,comdat
	.globl	_ZL24rocblas_symm_hemm_kernelILb1ELb1ELi32E19rocblas_complex_numIfEPKPKS1_PKPS1_EvbiiT2_T3_lllSA_lllT4_llli ; -- Begin function _ZL24rocblas_symm_hemm_kernelILb1ELb1ELi32E19rocblas_complex_numIfEPKPKS1_PKPS1_EvbiiT2_T3_lllSA_lllT4_llli
	.p2align	8
	.type	_ZL24rocblas_symm_hemm_kernelILb1ELb1ELi32E19rocblas_complex_numIfEPKPKS1_PKPS1_EvbiiT2_T3_lllSA_lllT4_llli,@function
_ZL24rocblas_symm_hemm_kernelILb1ELb1ELi32E19rocblas_complex_numIfEPKPKS1_PKPS1_EvbiiT2_T3_lllSA_lllT4_llli: ; @_ZL24rocblas_symm_hemm_kernelILb1ELb1ELi32E19rocblas_complex_numIfEPKPKS1_PKPS1_EvbiiT2_T3_lllSA_lllT4_llli
; %bb.0:
	s_load_dwordx4 s[8:11], s[0:1], 0x0
	s_load_dword s13, s[0:1], 0x10
	s_waitcnt lgkmcnt(0)
	v_cmp_eq_f32_e64 s[6:7], s11, 0
	v_cmp_eq_f32_e64 s[14:15], s13, 0
	s_and_b64 s[6:7], s[6:7], s[14:15]
	s_and_b64 vcc, exec, s[6:7]
	s_cbranch_vccnz .LBB59_21
; %bb.1:
	s_add_i32 s5, s10, -1
	s_ashr_i32 s6, s5, 31
	s_lshr_b32 s6, s6, 27
	s_add_i32 s5, s5, s6
	s_ashr_i32 s30, s5, 5
	s_cmp_gt_i32 s3, s30
	s_cbranch_scc1 .LBB59_21
; %bb.2:
	s_load_dwordx4 s[20:23], s[0:1], 0x18
	s_load_dwordx2 s[14:15], s[0:1], 0x28
	s_mov_b32 s5, 0
	s_lshl_b64 s[4:5], s[4:5], 3
	v_and_b32_e32 v22, 0x3ff, v0
	s_waitcnt lgkmcnt(0)
	s_add_u32 s6, s20, s4
	s_addc_u32 s7, s21, s5
	s_load_dwordx2 s[20:21], s[6:7], 0x0
	s_load_dwordx4 s[24:27], s[0:1], 0x38
	s_load_dwordx2 s[16:17], s[0:1], 0x48
	s_load_dwordx2 s[18:19], s[0:1], 0x68
	s_load_dwordx4 s[36:39], s[0:1], 0x58
	s_lshl_b64 s[6:7], s[22:23], 3
	s_waitcnt lgkmcnt(0)
	s_add_u32 s20, s20, s6
	s_addc_u32 s21, s21, s7
	s_add_u32 s6, s24, s4
	s_addc_u32 s7, s25, s5
	;; [unrolled: 2-line block ×3, first 2 shown]
	s_load_dwordx2 s[22:23], s[4:5], 0x0
	s_load_dwordx2 s[24:25], s[6:7], 0x0
	s_bitcmp1_b32 s8, 0
	s_cselect_b64 s[6:7], -1, 0
	s_lshl_b64 s[4:5], s[38:39], 3
	s_waitcnt lgkmcnt(0)
	s_add_u32 s4, s22, s4
	s_addc_u32 s5, s23, s5
	s_lshl_b64 s[22:23], s[26:27], 3
	s_add_u32 s22, s24, s22
	v_lshl_add_u32 v2, s2, 5, v22
	s_load_dword s2, s[0:1], 0x84
	s_addc_u32 s23, s25, s23
	v_ashrrev_i32_e32 v3, 31, v2
	v_bfe_u32 v23, v0, 10, 10
	s_cmp_gt_i32 s10, 0
	v_lshlrev_b64 v[0:1], 3, v[2:3]
	s_cselect_b64 s[24:25], -1, 0
	v_cmp_gt_i32_e64 s[8:9], s9, v2
	v_lshl_add_u64 v[8:9], s[22:23], 0, v[0:1]
	v_lshlrev_b32_e32 v2, 3, v23
	v_lshl_add_u64 v[10:11], s[4:5], 0, v[0:1]
	v_lshl_add_u32 v0, s3, 5, v23
	v_lshlrev_b32_e32 v24, 8, v22
	v_or_b32_e32 v26, 0x2000, v2
	v_sub_u32_e32 v28, 0, v0
	v_cndmask_b32_e64 v0, 0, 1, s[24:25]
	s_mov_b32 s12, s11
	v_add_u32_e32 v25, v24, v2
	v_add_u32_e32 v27, v26, v24
	s_mov_b32 s22, s13
	s_mov_b32 s23, s11
	s_waitcnt lgkmcnt(0)
	s_lshl_b32 s11, s2, 5
	v_cmp_ne_u32_e64 s[4:5], 1, v0
	v_add_u32_e32 v29, 0x800, v26
	v_add_u32_e32 v30, 0x1000, v26
	;; [unrolled: 1-line block ×3, first 2 shown]
	s_branch .LBB59_4
.LBB59_3:                               ;   in Loop: Header=BB59_4 Depth=1
	s_add_i32 s3, s3, s2
	s_cmp_gt_i32 s3, s30
	v_subrev_u32_e32 v28, s11, v28
	s_cbranch_scc1 .LBB59_21
.LBB59_4:                               ; =>This Loop Header: Depth=1
                                        ;     Child Loop BB59_7 Depth 2
	s_and_b64 vcc, exec, s[4:5]
	s_cbranch_vccnz .LBB59_3
; %bb.5:                                ;   in Loop: Header=BB59_4 Depth=1
	v_lshl_add_u32 v12, s3, 5, v23
	v_ashrrev_i32_e32 v13, 31, v12
	v_mul_lo_u32 v2, s14, v13
	v_mul_lo_u32 v3, s15, v12
	v_mad_u64_u32 v[0:1], s[0:1], s14, v12, 0
	v_add3_u32 v1, v1, v2, v3
	v_mul_lo_u32 v4, s18, v13
	v_mul_lo_u32 v5, s19, v12
	v_mad_u64_u32 v[2:3], s[0:1], s18, v12, 0
	v_lshl_add_u64 v[14:15], v[0:1], 3, s[20:21]
	v_lshlrev_b64 v[0:1], 3, v[12:13]
	v_cmp_gt_i32_e32 vcc, s10, v12
	v_add3_u32 v3, v3, v4, v5
	v_lshl_add_u64 v[16:17], s[20:21], 0, v[0:1]
	s_and_b64 s[24:25], s[8:9], vcc
	v_lshl_add_u64 v[18:19], v[2:3], 3, v[10:11]
	v_lshl_add_u64 v[20:21], v[14:15], 0, v[0:1]
	v_add_u32_e32 v13, v22, v28
	s_mov_b32 s31, 0
	s_branch .LBB59_7
.LBB59_6:                               ;   in Loop: Header=BB59_7 Depth=2
	s_or_b64 exec, exec, s[0:1]
	s_add_i32 s31, s31, 32
	s_cmp_ge_i32 s31, s10
	s_waitcnt lgkmcnt(0)
	s_barrier
	s_cbranch_scc1 .LBB59_3
.LBB59_7:                               ;   Parent Loop BB59_4 Depth=1
                                        ; =>  This Inner Loop Header: Depth=2
	v_add_u32_e32 v1, s31, v23
	v_cmp_gt_i32_e32 vcc, s10, v1
	s_and_b64 s[26:27], s[8:9], vcc
	v_mov_b32_e32 v0, 0
	v_mov_b32_e32 v2, 0
	;; [unrolled: 1-line block ×3, first 2 shown]
	s_and_saveexec_b64 s[0:1], s[26:27]
	s_cbranch_execz .LBB59_9
; %bb.8:                                ;   in Loop: Header=BB59_7 Depth=2
	v_ashrrev_i32_e32 v2, 31, v1
	v_mul_lo_u32 v4, s17, v1
	v_mul_lo_u32 v5, s16, v2
	v_mad_u64_u32 v[2:3], s[26:27], s16, v1, 0
	v_add3_u32 v3, v3, v5, v4
	v_lshl_add_u64 v[2:3], v[2:3], 3, v[8:9]
	flat_load_dwordx2 v[2:3], v[2:3]
.LBB59_9:                               ;   in Loop: Header=BB59_7 Depth=2
	s_or_b64 exec, exec, s[0:1]
	s_waitcnt vmcnt(0) lgkmcnt(0)
	ds_write_b64 v25, v[2:3]
	v_add_u32_e32 v2, s31, v22
	v_cndmask_b32_e64 v1, v12, v2, s[6:7]
	v_cndmask_b32_e64 v3, v2, v12, s[6:7]
	v_cmp_gt_i32_e64 s[0:1], v1, v3
	v_cmp_le_i32_e32 vcc, v1, v3
	s_nop 0
	v_cndmask_b32_e64 v1, v2, v12, s[0:1]
	v_cndmask_b32_e64 v3, v12, v2, s[0:1]
	v_max_i32_e32 v1, v1, v3
	v_cmp_gt_i32_e64 s[0:1], s10, v1
	v_mov_b32_e32 v1, 0
	s_and_saveexec_b64 s[26:27], s[0:1]
	s_cbranch_execz .LBB59_19
; %bb.10:                               ;   in Loop: Header=BB59_7 Depth=2
                                        ; implicit-def: $vgpr1
	s_and_saveexec_b64 s[0:1], vcc
	s_xor_b64 s[0:1], exec, s[0:1]
	s_cbranch_execz .LBB59_16
; %bb.11:                               ;   in Loop: Header=BB59_7 Depth=2
	v_add_u32_e32 v0, s31, v13
	v_cmp_ne_u32_e32 vcc, 0, v0
                                        ; implicit-def: $vgpr1
	s_and_saveexec_b64 s[28:29], vcc
	s_xor_b64 s[28:29], exec, s[28:29]
	s_cbranch_execz .LBB59_13
; %bb.12:                               ;   in Loop: Header=BB59_7 Depth=2
	v_ashrrev_i32_e32 v3, 31, v2
	v_lshl_add_u64 v[0:1], v[2:3], 3, v[14:15]
	flat_load_dwordx2 v[0:1], v[0:1]
.LBB59_13:                              ;   in Loop: Header=BB59_7 Depth=2
	s_andn2_saveexec_b64 s[28:29], s[28:29]
	s_cbranch_execz .LBB59_15
; %bb.14:                               ;   in Loop: Header=BB59_7 Depth=2
	s_waitcnt vmcnt(0) lgkmcnt(0)
	flat_load_dword v0, v[20:21]
	v_mov_b32_e32 v1, 0
.LBB59_15:                              ;   in Loop: Header=BB59_7 Depth=2
	s_or_b64 exec, exec, s[28:29]
                                        ; implicit-def: $vgpr2
.LBB59_16:                              ;   in Loop: Header=BB59_7 Depth=2
	s_andn2_saveexec_b64 s[0:1], s[0:1]
	s_cbranch_execz .LBB59_18
; %bb.17:                               ;   in Loop: Header=BB59_7 Depth=2
	s_waitcnt vmcnt(0) lgkmcnt(0)
	v_ashrrev_i32_e32 v0, 31, v2
	v_mul_lo_u32 v3, s15, v2
	v_mul_lo_u32 v4, s14, v0
	v_mad_u64_u32 v[0:1], s[28:29], s14, v2, 0
	v_add3_u32 v1, v1, v4, v3
	v_lshl_add_u64 v[0:1], v[0:1], 3, v[16:17]
	flat_load_dwordx2 v[0:1], v[0:1]
	s_waitcnt vmcnt(0) lgkmcnt(0)
	v_xor_b32_e32 v1, 0x80000000, v1
.LBB59_18:                              ;   in Loop: Header=BB59_7 Depth=2
	s_or_b64 exec, exec, s[0:1]
.LBB59_19:                              ;   in Loop: Header=BB59_7 Depth=2
	s_or_b64 exec, exec, s[26:27]
	s_waitcnt vmcnt(0) lgkmcnt(0)
	ds_write_b64 v27, v[0:1]
	s_waitcnt lgkmcnt(0)
	s_barrier
	s_and_saveexec_b64 s[0:1], s[24:25]
	s_cbranch_execz .LBB59_6
; %bb.20:                               ;   in Loop: Header=BB59_7 Depth=2
	ds_read2_b64 v[0:3], v26 offset1:32
	ds_read_b128 v[4:7], v24
	ds_read_b128 v[32:35], v24 offset:16
	ds_read_b128 v[36:39], v24 offset:32
	;; [unrolled: 1-line block ×3, first 2 shown]
	s_waitcnt lgkmcnt(3)
	v_mul_f32_e32 v44, v1, v5
	v_fma_f32 v44, v0, v4, -v44
	v_mul_f32_e32 v0, v0, v5
	v_fmac_f32_e32 v0, v1, v4
	v_add_f32_e32 v1, 0, v44
	ds_read2_b64 v[44:47], v26 offset0:64 offset1:96
	v_mul_f32_e32 v4, v3, v7
	v_fma_f32 v4, v2, v6, -v4
	v_mul_f32_e32 v2, v2, v7
	v_add_f32_e32 v0, 0, v0
	v_fmac_f32_e32 v2, v3, v6
	s_waitcnt lgkmcnt(0)
	v_mul_f32_e32 v3, v44, v33
	v_add_f32_e32 v0, v0, v2
	v_mul_f32_e32 v2, v45, v33
	v_fmac_f32_e32 v3, v45, v32
	v_add_f32_e32 v1, v1, v4
	v_fma_f32 v2, v44, v32, -v2
	v_add_f32_e32 v5, v0, v3
	v_mul_f32_e32 v0, v47, v35
	v_add_f32_e32 v4, v1, v2
	v_fma_f32 v6, v46, v34, -v0
	ds_read2_b64 v[0:3], v26 offset0:128 offset1:160
	v_mul_f32_e32 v7, v46, v35
	v_add_f32_e32 v4, v4, v6
	v_fmac_f32_e32 v7, v47, v34
	v_add_f32_e32 v5, v5, v7
	s_waitcnt lgkmcnt(0)
	v_mul_f32_e32 v6, v1, v37
	v_fma_f32 v6, v0, v36, -v6
	v_mul_f32_e32 v0, v0, v37
	v_fmac_f32_e32 v0, v1, v36
	v_add_f32_e32 v1, v4, v6
	v_mul_f32_e32 v4, v3, v39
	v_add_f32_e32 v0, v5, v0
	v_fma_f32 v32, v2, v38, -v4
	ds_read2_b64 v[4:7], v26 offset0:192 offset1:224
	v_mul_f32_e32 v2, v2, v39
	v_fmac_f32_e32 v2, v3, v38
	v_add_f32_e32 v0, v0, v2
	v_add_f32_e32 v1, v1, v32
	s_waitcnt lgkmcnt(0)
	v_mul_f32_e32 v3, v4, v41
	v_mul_f32_e32 v2, v5, v41
	v_fmac_f32_e32 v3, v5, v40
	v_fma_f32 v2, v4, v40, -v2
	v_add_f32_e32 v5, v0, v3
	v_mul_f32_e32 v0, v7, v43
	v_add_f32_e32 v4, v1, v2
	v_fma_f32 v36, v6, v42, -v0
	ds_read_b128 v[0:3], v24 offset:64
	ds_read2_b64 v[32:35], v29 offset1:32
	v_mul_f32_e32 v6, v6, v43
	v_fmac_f32_e32 v6, v7, v42
	v_add_f32_e32 v36, v4, v36
	v_add_f32_e32 v37, v5, v6
	s_waitcnt lgkmcnt(0)
	v_mul_f32_e32 v38, v33, v1
	v_mul_f32_e32 v1, v32, v1
	v_fma_f32 v38, v32, v0, -v38
	v_fmac_f32_e32 v1, v33, v0
	ds_read_b128 v[4:7], v24 offset:80
	v_add_f32_e32 v0, v36, v38
	v_add_f32_e32 v1, v37, v1
	ds_read2_b64 v[36:39], v29 offset0:64 offset1:96
	v_mul_f32_e32 v32, v35, v3
	v_mul_f32_e32 v3, v34, v3
	v_fma_f32 v32, v34, v2, -v32
	v_fmac_f32_e32 v3, v35, v2
	s_waitcnt lgkmcnt(0)
	v_mul_f32_e32 v2, v37, v5
	v_add_f32_e32 v0, v0, v32
	v_add_f32_e32 v1, v1, v3
	v_fma_f32 v2, v36, v4, -v2
	v_mul_f32_e32 v3, v36, v5
	v_fmac_f32_e32 v3, v37, v4
	v_add_f32_e32 v4, v0, v2
	v_mul_f32_e32 v0, v39, v7
	v_add_f32_e32 v5, v1, v3
	v_fma_f32 v36, v38, v6, -v0
	ds_read_b128 v[0:3], v24 offset:96
	ds_read2_b64 v[32:35], v29 offset0:128 offset1:160
	v_mul_f32_e32 v7, v38, v7
	v_fmac_f32_e32 v7, v39, v6
	v_add_f32_e32 v36, v4, v36
	v_add_f32_e32 v37, v5, v7
	s_waitcnt lgkmcnt(0)
	v_mul_f32_e32 v38, v33, v1
	v_mul_f32_e32 v1, v32, v1
	v_fma_f32 v38, v32, v0, -v38
	v_fmac_f32_e32 v1, v33, v0
	ds_read_b128 v[4:7], v24 offset:112
	v_add_f32_e32 v0, v36, v38
	v_add_f32_e32 v1, v37, v1
	ds_read2_b64 v[36:39], v29 offset0:192 offset1:224
	v_mul_f32_e32 v32, v35, v3
	v_mul_f32_e32 v3, v34, v3
	v_fma_f32 v32, v34, v2, -v32
	v_fmac_f32_e32 v3, v35, v2
	s_waitcnt lgkmcnt(0)
	v_mul_f32_e32 v2, v37, v5
	v_add_f32_e32 v0, v0, v32
	v_add_f32_e32 v1, v1, v3
	v_fma_f32 v2, v36, v4, -v2
	v_mul_f32_e32 v3, v36, v5
	v_fmac_f32_e32 v3, v37, v4
	v_add_f32_e32 v4, v0, v2
	v_mul_f32_e32 v0, v39, v7
	v_add_f32_e32 v5, v1, v3
	v_fma_f32 v36, v38, v6, -v0
	ds_read_b128 v[0:3], v24 offset:128
	ds_read2_b64 v[32:35], v30 offset1:32
	v_mul_f32_e32 v7, v38, v7
	v_fmac_f32_e32 v7, v39, v6
	v_add_f32_e32 v4, v4, v36
	ds_read_b128 v[36:39], v24 offset:144
	ds_read2_b64 v[40:43], v30 offset0:64 offset1:96
	s_waitcnt lgkmcnt(2)
	v_mul_f32_e32 v6, v33, v1
	v_fma_f32 v6, v32, v0, -v6
	v_mul_f32_e32 v1, v32, v1
	v_add_f32_e32 v5, v5, v7
	v_fmac_f32_e32 v1, v33, v0
	v_add_f32_e32 v0, v4, v6
	v_mul_f32_e32 v4, v35, v3
	v_mul_f32_e32 v3, v34, v3
	v_add_f32_e32 v1, v5, v1
	v_fma_f32 v4, v34, v2, -v4
	v_fmac_f32_e32 v3, v35, v2
	s_waitcnt lgkmcnt(0)
	v_mul_f32_e32 v2, v41, v37
	v_add_f32_e32 v0, v0, v4
	v_add_f32_e32 v1, v1, v3
	v_fma_f32 v2, v40, v36, -v2
	v_mul_f32_e32 v3, v40, v37
	v_fmac_f32_e32 v3, v41, v36
	v_add_f32_e32 v32, v0, v2
	v_mul_f32_e32 v0, v43, v39
	v_add_f32_e32 v33, v1, v3
	v_fma_f32 v34, v42, v38, -v0
	ds_read_b128 v[0:3], v24 offset:160
	ds_read2_b64 v[4:7], v30 offset0:128 offset1:160
	flat_load_dwordx2 v[40:41], v[18:19]
	v_mul_f32_e32 v35, v42, v39
	v_fmac_f32_e32 v35, v43, v38
	v_add_f32_e32 v36, v32, v34
	s_waitcnt lgkmcnt(0)
	v_mul_f32_e32 v38, v5, v1
	v_mul_f32_e32 v1, v4, v1
	v_add_f32_e32 v37, v33, v35
	v_fma_f32 v38, v4, v0, -v38
	v_fmac_f32_e32 v1, v5, v0
	ds_read_b128 v[32:35], v24 offset:176
	v_add_f32_e32 v0, v36, v38
	v_add_f32_e32 v1, v37, v1
	ds_read2_b64 v[36:39], v30 offset0:192 offset1:224
	v_mul_f32_e32 v4, v7, v3
	v_mul_f32_e32 v3, v6, v3
	v_fma_f32 v4, v6, v2, -v4
	v_fmac_f32_e32 v3, v7, v2
	s_waitcnt lgkmcnt(0)
	v_mul_f32_e32 v2, v37, v33
	v_add_f32_e32 v0, v0, v4
	v_add_f32_e32 v1, v1, v3
	v_fma_f32 v2, v36, v32, -v2
	v_mul_f32_e32 v3, v36, v33
	v_fmac_f32_e32 v3, v37, v32
	v_add_f32_e32 v32, v0, v2
	v_mul_f32_e32 v0, v39, v35
	v_add_f32_e32 v33, v1, v3
	v_fma_f32 v36, v38, v34, -v0
	ds_read_b128 v[0:3], v24 offset:192
	ds_read2_b64 v[4:7], v31 offset1:32
	v_mul_f32_e32 v35, v38, v35
	v_fmac_f32_e32 v35, v39, v34
	v_add_f32_e32 v36, v32, v36
	v_add_f32_e32 v37, v33, v35
	s_waitcnt lgkmcnt(0)
	v_mul_f32_e32 v38, v5, v1
	v_mul_f32_e32 v1, v4, v1
	v_fma_f32 v38, v4, v0, -v38
	v_fmac_f32_e32 v1, v5, v0
	ds_read_b128 v[32:35], v24 offset:208
	v_add_f32_e32 v0, v36, v38
	v_add_f32_e32 v1, v37, v1
	ds_read2_b64 v[36:39], v31 offset0:64 offset1:96
	v_mul_f32_e32 v4, v7, v3
	v_mul_f32_e32 v3, v6, v3
	v_fma_f32 v4, v6, v2, -v4
	v_fmac_f32_e32 v3, v7, v2
	s_waitcnt lgkmcnt(0)
	v_mul_f32_e32 v2, v37, v33
	v_add_f32_e32 v0, v0, v4
	v_add_f32_e32 v1, v1, v3
	v_fma_f32 v2, v36, v32, -v2
	v_mul_f32_e32 v3, v36, v33
	v_fmac_f32_e32 v3, v37, v32
	v_add_f32_e32 v32, v0, v2
	v_mul_f32_e32 v0, v39, v35
	v_add_f32_e32 v33, v1, v3
	v_fma_f32 v36, v38, v34, -v0
	ds_read_b128 v[0:3], v24 offset:224
	ds_read2_b64 v[4:7], v31 offset0:128 offset1:160
	v_mul_f32_e32 v35, v38, v35
	v_fmac_f32_e32 v35, v39, v34
	v_add_f32_e32 v36, v32, v36
	v_add_f32_e32 v37, v33, v35
	s_waitcnt lgkmcnt(0)
	v_mul_f32_e32 v38, v5, v1
	v_mul_f32_e32 v1, v4, v1
	v_fma_f32 v38, v4, v0, -v38
	v_fmac_f32_e32 v1, v5, v0
	ds_read_b128 v[32:35], v24 offset:240
	v_add_f32_e32 v0, v36, v38
	v_add_f32_e32 v1, v37, v1
	ds_read2_b64 v[36:39], v31 offset0:192 offset1:224
	v_mul_f32_e32 v4, v7, v3
	v_mul_f32_e32 v3, v6, v3
	v_fmac_f32_e32 v3, v7, v2
	v_fma_f32 v4, v6, v2, -v4
	v_add_f32_e32 v1, v1, v3
	s_waitcnt lgkmcnt(0)
	v_mul_f32_e32 v2, v37, v33
	v_mul_f32_e32 v3, v36, v33
	v_add_f32_e32 v0, v0, v4
	v_fma_f32 v2, v36, v32, -v2
	v_fmac_f32_e32 v3, v37, v32
	v_add_f32_e32 v0, v0, v2
	v_add_f32_e32 v1, v1, v3
	v_mul_f32_e32 v2, v39, v35
	v_mul_f32_e32 v3, v38, v35
	v_fma_f32 v2, v38, v34, -v2
	v_fmac_f32_e32 v3, v39, v34
	v_add_f32_e32 v0, v0, v2
	v_add_f32_e32 v2, v1, v3
	v_pk_mul_f32 v[2:3], s[22:23], v[2:3] op_sel_hi:[1,0]
	s_nop 0
	v_pk_fma_f32 v[4:5], s[12:13], v[0:1], v[2:3] neg_lo:[0,0,1] neg_hi:[0,0,1]
	v_pk_fma_f32 v[0:1], s[12:13], v[0:1], v[2:3] op_sel_hi:[1,0,1]
	s_nop 0
	v_mov_b32_e32 v5, v1
	s_waitcnt vmcnt(0)
	v_pk_add_f32 v[0:1], v[40:41], v[4:5]
	flat_store_dwordx2 v[18:19], v[0:1]
	s_branch .LBB59_6
.LBB59_21:
	s_endpgm
	.section	.rodata,"a",@progbits
	.p2align	6, 0x0
	.amdhsa_kernel _ZL24rocblas_symm_hemm_kernelILb1ELb1ELi32E19rocblas_complex_numIfEPKPKS1_PKPS1_EvbiiT2_T3_lllSA_lllT4_llli
		.amdhsa_group_segment_fixed_size 16384
		.amdhsa_private_segment_fixed_size 0
		.amdhsa_kernarg_size 384
		.amdhsa_user_sgpr_count 2
		.amdhsa_user_sgpr_dispatch_ptr 0
		.amdhsa_user_sgpr_queue_ptr 0
		.amdhsa_user_sgpr_kernarg_segment_ptr 1
		.amdhsa_user_sgpr_dispatch_id 0
		.amdhsa_user_sgpr_kernarg_preload_length 0
		.amdhsa_user_sgpr_kernarg_preload_offset 0
		.amdhsa_user_sgpr_private_segment_size 0
		.amdhsa_uses_dynamic_stack 0
		.amdhsa_enable_private_segment 0
		.amdhsa_system_sgpr_workgroup_id_x 1
		.amdhsa_system_sgpr_workgroup_id_y 1
		.amdhsa_system_sgpr_workgroup_id_z 1
		.amdhsa_system_sgpr_workgroup_info 0
		.amdhsa_system_vgpr_workitem_id 1
		.amdhsa_next_free_vgpr 48
		.amdhsa_next_free_sgpr 40
		.amdhsa_accum_offset 48
		.amdhsa_reserve_vcc 1
		.amdhsa_float_round_mode_32 0
		.amdhsa_float_round_mode_16_64 0
		.amdhsa_float_denorm_mode_32 3
		.amdhsa_float_denorm_mode_16_64 3
		.amdhsa_dx10_clamp 1
		.amdhsa_ieee_mode 1
		.amdhsa_fp16_overflow 0
		.amdhsa_tg_split 0
		.amdhsa_exception_fp_ieee_invalid_op 0
		.amdhsa_exception_fp_denorm_src 0
		.amdhsa_exception_fp_ieee_div_zero 0
		.amdhsa_exception_fp_ieee_overflow 0
		.amdhsa_exception_fp_ieee_underflow 0
		.amdhsa_exception_fp_ieee_inexact 0
		.amdhsa_exception_int_div_zero 0
	.end_amdhsa_kernel
	.section	.text._ZL24rocblas_symm_hemm_kernelILb1ELb1ELi32E19rocblas_complex_numIfEPKPKS1_PKPS1_EvbiiT2_T3_lllSA_lllT4_llli,"axG",@progbits,_ZL24rocblas_symm_hemm_kernelILb1ELb1ELi32E19rocblas_complex_numIfEPKPKS1_PKPS1_EvbiiT2_T3_lllSA_lllT4_llli,comdat
.Lfunc_end59:
	.size	_ZL24rocblas_symm_hemm_kernelILb1ELb1ELi32E19rocblas_complex_numIfEPKPKS1_PKPS1_EvbiiT2_T3_lllSA_lllT4_llli, .Lfunc_end59-_ZL24rocblas_symm_hemm_kernelILb1ELb1ELi32E19rocblas_complex_numIfEPKPKS1_PKPS1_EvbiiT2_T3_lllSA_lllT4_llli
                                        ; -- End function
	.set _ZL24rocblas_symm_hemm_kernelILb1ELb1ELi32E19rocblas_complex_numIfEPKPKS1_PKPS1_EvbiiT2_T3_lllSA_lllT4_llli.num_vgpr, 48
	.set _ZL24rocblas_symm_hemm_kernelILb1ELb1ELi32E19rocblas_complex_numIfEPKPKS1_PKPS1_EvbiiT2_T3_lllSA_lllT4_llli.num_agpr, 0
	.set _ZL24rocblas_symm_hemm_kernelILb1ELb1ELi32E19rocblas_complex_numIfEPKPKS1_PKPS1_EvbiiT2_T3_lllSA_lllT4_llli.numbered_sgpr, 40
	.set _ZL24rocblas_symm_hemm_kernelILb1ELb1ELi32E19rocblas_complex_numIfEPKPKS1_PKPS1_EvbiiT2_T3_lllSA_lllT4_llli.num_named_barrier, 0
	.set _ZL24rocblas_symm_hemm_kernelILb1ELb1ELi32E19rocblas_complex_numIfEPKPKS1_PKPS1_EvbiiT2_T3_lllSA_lllT4_llli.private_seg_size, 0
	.set _ZL24rocblas_symm_hemm_kernelILb1ELb1ELi32E19rocblas_complex_numIfEPKPKS1_PKPS1_EvbiiT2_T3_lllSA_lllT4_llli.uses_vcc, 1
	.set _ZL24rocblas_symm_hemm_kernelILb1ELb1ELi32E19rocblas_complex_numIfEPKPKS1_PKPS1_EvbiiT2_T3_lllSA_lllT4_llli.uses_flat_scratch, 0
	.set _ZL24rocblas_symm_hemm_kernelILb1ELb1ELi32E19rocblas_complex_numIfEPKPKS1_PKPS1_EvbiiT2_T3_lllSA_lllT4_llli.has_dyn_sized_stack, 0
	.set _ZL24rocblas_symm_hemm_kernelILb1ELb1ELi32E19rocblas_complex_numIfEPKPKS1_PKPS1_EvbiiT2_T3_lllSA_lllT4_llli.has_recursion, 0
	.set _ZL24rocblas_symm_hemm_kernelILb1ELb1ELi32E19rocblas_complex_numIfEPKPKS1_PKPS1_EvbiiT2_T3_lllSA_lllT4_llli.has_indirect_call, 0
	.section	.AMDGPU.csdata,"",@progbits
; Kernel info:
; codeLenInByte = 2252
; TotalNumSgprs: 46
; NumVgprs: 48
; NumAgprs: 0
; TotalNumVgprs: 48
; ScratchSize: 0
; MemoryBound: 0
; FloatMode: 240
; IeeeMode: 1
; LDSByteSize: 16384 bytes/workgroup (compile time only)
; SGPRBlocks: 5
; VGPRBlocks: 5
; NumSGPRsForWavesPerEU: 46
; NumVGPRsForWavesPerEU: 48
; AccumOffset: 48
; Occupancy: 8
; WaveLimiterHint : 1
; COMPUTE_PGM_RSRC2:SCRATCH_EN: 0
; COMPUTE_PGM_RSRC2:USER_SGPR: 2
; COMPUTE_PGM_RSRC2:TRAP_HANDLER: 0
; COMPUTE_PGM_RSRC2:TGID_X_EN: 1
; COMPUTE_PGM_RSRC2:TGID_Y_EN: 1
; COMPUTE_PGM_RSRC2:TGID_Z_EN: 1
; COMPUTE_PGM_RSRC2:TIDIG_COMP_CNT: 1
; COMPUTE_PGM_RSRC3_GFX90A:ACCUM_OFFSET: 11
; COMPUTE_PGM_RSRC3_GFX90A:TG_SPLIT: 0
	.section	.text._ZL24rocblas_symm_hemm_kernelILb1ELb0ELi32EPK19rocblas_complex_numIdEPKS3_PKPS1_EvbiiT2_T3_lllSA_lllT4_llli,"axG",@progbits,_ZL24rocblas_symm_hemm_kernelILb1ELb0ELi32EPK19rocblas_complex_numIdEPKS3_PKPS1_EvbiiT2_T3_lllSA_lllT4_llli,comdat
	.globl	_ZL24rocblas_symm_hemm_kernelILb1ELb0ELi32EPK19rocblas_complex_numIdEPKS3_PKPS1_EvbiiT2_T3_lllSA_lllT4_llli ; -- Begin function _ZL24rocblas_symm_hemm_kernelILb1ELb0ELi32EPK19rocblas_complex_numIdEPKS3_PKPS1_EvbiiT2_T3_lllSA_lllT4_llli
	.p2align	8
	.type	_ZL24rocblas_symm_hemm_kernelILb1ELb0ELi32EPK19rocblas_complex_numIdEPKS3_PKPS1_EvbiiT2_T3_lllSA_lllT4_llli,@function
_ZL24rocblas_symm_hemm_kernelILb1ELb0ELi32EPK19rocblas_complex_numIdEPKS3_PKPS1_EvbiiT2_T3_lllSA_lllT4_llli: ; @_ZL24rocblas_symm_hemm_kernelILb1ELb0ELi32EPK19rocblas_complex_numIdEPKS3_PKPS1_EvbiiT2_T3_lllSA_lllT4_llli
; %bb.0:
	s_load_dwordx8 s[8:15], s[0:1], 0x10
	s_waitcnt lgkmcnt(0)
	s_load_dwordx4 s[16:19], s[8:9], 0x0
	s_waitcnt lgkmcnt(0)
	v_cmp_eq_f64_e64 s[6:7], s[16:17], 0
	v_cmp_eq_f64_e64 s[8:9], s[18:19], 0
	s_and_b64 s[6:7], s[6:7], s[8:9]
	s_and_b64 vcc, exec, s[6:7]
	s_cbranch_vccnz .LBB60_21
; %bb.1:
	s_load_dwordx4 s[20:23], s[0:1], 0x0
	s_waitcnt lgkmcnt(0)
	s_add_i32 s5, s22, -1
	s_ashr_i32 s6, s5, 31
	s_lshr_b32 s6, s6, 27
	s_add_i32 s5, s5, s6
	s_ashr_i32 s23, s5, 5
	s_cmp_gt_i32 s3, s23
	s_cbranch_scc1 .LBB60_21
; %bb.2:
	s_load_dwordx4 s[28:31], s[0:1], 0x38
	s_load_dwordx2 s[24:25], s[0:1], 0x48
	s_mov_b32 s5, 0
	s_lshl_b64 s[4:5], s[4:5], 3
	s_add_u32 s6, s10, s4
	s_addc_u32 s7, s11, s5
	s_waitcnt lgkmcnt(0)
	s_add_u32 s28, s28, s4
	s_addc_u32 s29, s29, s5
	s_load_dwordx2 s[34:35], s[28:29], 0x0
	s_load_dwordx4 s[8:11], s[0:1], 0x58
	s_load_dwordx2 s[26:27], s[0:1], 0x68
	s_lshl_b64 s[28:29], s[30:31], 4
	v_and_b32_e32 v36, 0x3ff, v0
	s_waitcnt lgkmcnt(0)
	s_add_u32 s28, s34, s28
	s_addc_u32 s29, s35, s29
	s_add_u32 s4, s8, s4
	s_addc_u32 s5, s9, s5
	s_load_dwordx2 s[8:9], s[4:5], 0x0
	s_load_dwordx2 s[30:31], s[6:7], 0x0
	s_bitcmp1_b32 s20, 0
	s_cselect_b64 s[6:7], -1, 0
	s_lshl_b64 s[4:5], s[10:11], 4
	s_waitcnt lgkmcnt(0)
	s_add_u32 s4, s8, s4
	s_addc_u32 s5, s9, s5
	s_lshl_b64 s[8:9], s[12:13], 4
	s_add_u32 s8, s30, s8
	v_lshl_add_u32 v16, s2, 5, v36
	s_addc_u32 s9, s31, s9
	v_ashrrev_i32_e32 v17, 31, v16
	s_load_dword s2, s[0:1], 0x84
	v_bfe_u32 v37, v0, 10, 10
	s_cmp_gt_i32 s21, 0
	v_mul_lo_u32 v4, s14, v17
	v_mul_lo_u32 v5, s15, v16
	v_mad_u64_u32 v[2:3], s[10:11], s14, v16, 0
	v_lshlrev_b64 v[0:1], 4, v[16:17]
	v_add3_u32 v3, v3, v4, v5
	v_lshlrev_b32_e32 v4, 4, v37
	s_cselect_b64 s[0:1], -1, 0
	v_lshl_add_u64 v[18:19], s[8:9], 0, v[0:1]
	v_lshlrev_b64 v[2:3], 4, v[2:3]
	v_lshlrev_b32_e32 v17, 9, v36
	v_or_b32_e32 v39, 0x4000, v4
	v_lshl_add_u64 v[22:23], s[4:5], 0, v[0:1]
	v_cndmask_b32_e64 v0, 0, 1, s[0:1]
	v_lshl_add_u64 v[20:21], s[8:9], 0, v[2:3]
	v_add_u32_e32 v38, v17, v4
	v_add_u32_e32 v40, v39, v17
	v_cmp_gt_i32_e64 s[8:9], s21, v16
	v_lshl_add_u64 v[24:25], v[18:19], 0, v[2:3]
	v_cmp_ne_u32_e64 s[4:5], 1, v0
	s_branch .LBB60_4
.LBB60_3:                               ;   in Loop: Header=BB60_4 Depth=1
	s_waitcnt lgkmcnt(0)
	s_add_i32 s3, s3, s2
	s_cmp_gt_i32 s3, s23
	s_cbranch_scc1 .LBB60_21
.LBB60_4:                               ; =>This Loop Header: Depth=1
                                        ;     Child Loop BB60_7 Depth 2
	s_and_b64 vcc, exec, s[4:5]
	s_cbranch_vccnz .LBB60_3
; %bb.5:                                ;   in Loop: Header=BB60_4 Depth=1
	v_lshl_add_u32 v2, s3, 5, v37
	v_ashrrev_i32_e32 v3, 31, v2
	v_mul_lo_u32 v4, s24, v3
	v_mul_lo_u32 v5, s25, v2
	v_mad_u64_u32 v[0:1], s[0:1], s24, v2, 0
	v_add3_u32 v1, v1, v4, v5
	v_lshl_add_u64 v[26:27], v[0:1], 4, s[28:29]
	v_mul_lo_u32 v3, s26, v3
	v_mul_lo_u32 v4, s27, v2
	v_mad_u64_u32 v[0:1], s[0:1], s26, v2, 0
	v_cmp_gt_i32_e32 vcc, s22, v2
	v_add3_u32 v1, v1, v3, v4
	s_and_b64 s[12:13], s[8:9], vcc
	v_lshl_add_u64 v[28:29], v[0:1], 4, v[22:23]
	s_mov_b32 s20, 0
	s_branch .LBB60_7
.LBB60_6:                               ;   in Loop: Header=BB60_7 Depth=2
	s_or_b64 exec, exec, s[0:1]
	s_add_i32 s20, s20, 32
	s_cmp_ge_i32 s20, s21
	s_waitcnt lgkmcnt(0)
	s_barrier
	s_cbranch_scc1 .LBB60_3
.LBB60_7:                               ;   Parent Loop BB60_4 Depth=1
                                        ; =>  This Inner Loop Header: Depth=2
	v_add_u32_e32 v6, s20, v37
	v_cndmask_b32_e64 v0, v6, v16, s[6:7]
	v_cndmask_b32_e64 v1, v16, v6, s[6:7]
	v_cmp_gt_i32_e64 s[10:11], v0, v1
	v_cmp_le_i32_e64 s[0:1], v0, v1
	v_mov_b64_e32 v[2:3], 0
	v_cndmask_b32_e64 v0, v16, v6, s[10:11]
	v_cndmask_b32_e64 v1, v6, v16, s[10:11]
	v_max_i32_e32 v0, v0, v1
	v_cmp_gt_i32_e64 s[10:11], s21, v0
	v_mov_b64_e32 v[0:1], 0
	v_mov_b64_e32 v[4:5], 0
	s_and_saveexec_b64 s[30:31], s[10:11]
	s_cbranch_execz .LBB60_17
; %bb.8:                                ;   in Loop: Header=BB60_7 Depth=2
                                        ; implicit-def: $vgpr4_vgpr5
	s_and_saveexec_b64 s[10:11], s[0:1]
	s_xor_b64 s[10:11], exec, s[10:11]
	s_cbranch_execz .LBB60_14
; %bb.9:                                ;   in Loop: Header=BB60_7 Depth=2
	v_cmp_ne_u32_e64 s[0:1], v6, v16
                                        ; implicit-def: $vgpr4_vgpr5
	s_and_saveexec_b64 s[34:35], s[0:1]
	s_xor_b64 s[0:1], exec, s[34:35]
	s_cbranch_execz .LBB60_11
; %bb.10:                               ;   in Loop: Header=BB60_7 Depth=2
	v_ashrrev_i32_e32 v2, 31, v6
	v_mul_lo_u32 v4, s15, v6
	v_mul_lo_u32 v5, s14, v2
	v_mad_u64_u32 v[2:3], s[34:35], s14, v6, 0
	v_add3_u32 v3, v3, v5, v4
	v_lshl_add_u64 v[2:3], v[2:3], 4, v[18:19]
	flat_load_dwordx4 v[2:5], v[2:3]
.LBB60_11:                              ;   in Loop: Header=BB60_7 Depth=2
	s_andn2_saveexec_b64 s[0:1], s[0:1]
	s_cbranch_execz .LBB60_13
; %bb.12:                               ;   in Loop: Header=BB60_7 Depth=2
	s_waitcnt vmcnt(0) lgkmcnt(0)
	flat_load_dwordx2 v[2:3], v[24:25]
	v_mov_b64_e32 v[4:5], 0
.LBB60_13:                              ;   in Loop: Header=BB60_7 Depth=2
	s_or_b64 exec, exec, s[0:1]
                                        ; implicit-def: $vgpr6
.LBB60_14:                              ;   in Loop: Header=BB60_7 Depth=2
	s_andn2_saveexec_b64 s[0:1], s[10:11]
	s_cbranch_execz .LBB60_16
; %bb.15:                               ;   in Loop: Header=BB60_7 Depth=2
	v_ashrrev_i32_e32 v7, 31, v6
	s_waitcnt vmcnt(0) lgkmcnt(0)
	v_lshl_add_u64 v[2:3], v[6:7], 4, v[20:21]
	flat_load_dwordx4 v[2:5], v[2:3]
	s_waitcnt vmcnt(0) lgkmcnt(0)
	v_xor_b32_e32 v5, 0x80000000, v5
.LBB60_16:                              ;   in Loop: Header=BB60_7 Depth=2
	s_or_b64 exec, exec, s[0:1]
.LBB60_17:                              ;   in Loop: Header=BB60_7 Depth=2
	s_or_b64 exec, exec, s[30:31]
	s_waitcnt vmcnt(0) lgkmcnt(0)
	ds_write_b128 v38, v[2:5]
	v_add_u32_e32 v4, s20, v36
	v_cmp_gt_i32_e64 s[0:1], s21, v4
	s_and_b64 s[10:11], s[0:1], vcc
	v_mov_b64_e32 v[2:3], 0
	s_and_saveexec_b64 s[0:1], s[10:11]
	s_cbranch_execz .LBB60_19
; %bb.18:                               ;   in Loop: Header=BB60_7 Depth=2
	v_ashrrev_i32_e32 v5, 31, v4
	v_lshl_add_u64 v[0:1], v[4:5], 4, v[26:27]
	flat_load_dwordx4 v[0:3], v[0:1]
.LBB60_19:                              ;   in Loop: Header=BB60_7 Depth=2
	s_or_b64 exec, exec, s[0:1]
	s_waitcnt vmcnt(0) lgkmcnt(0)
	ds_write_b128 v40, v[0:3]
	s_waitcnt lgkmcnt(0)
	s_barrier
	s_and_saveexec_b64 s[0:1], s[12:13]
	s_cbranch_execz .LBB60_6
; %bb.20:                               ;   in Loop: Header=BB60_7 Depth=2
	ds_read_b128 v[0:3], v39
	ds_read_b128 v[4:7], v17
	ds_read_b128 v[8:11], v17 offset:16
	ds_read_b128 v[12:15], v17 offset:32
	;; [unrolled: 1-line block ×4, first 2 shown]
	s_waitcnt lgkmcnt(4)
	v_mul_f64 v[34:35], v[2:3], v[6:7]
	v_fma_f64 v[34:35], v[0:1], v[4:5], -v[34:35]
	v_mul_f64 v[0:1], v[0:1], v[6:7]
	v_fmac_f64_e32 v[0:1], v[2:3], v[4:5]
	v_add_f64 v[6:7], v[0:1], 0
	s_waitcnt lgkmcnt(0)
	v_mul_f64 v[0:1], v[44:45], v[10:11]
	v_add_f64 v[4:5], v[34:35], 0
	v_fma_f64 v[34:35], v[42:43], v[8:9], -v[0:1]
	ds_read_b128 v[0:3], v39 offset:1024
	v_mul_f64 v[10:11], v[42:43], v[10:11]
	v_fmac_f64_e32 v[10:11], v[44:45], v[8:9]
	v_add_f64 v[8:9], v[4:5], v[34:35]
	v_add_f64 v[10:11], v[6:7], v[10:11]
	ds_read_b128 v[4:7], v39 offset:1536
	s_waitcnt lgkmcnt(1)
	v_mul_f64 v[34:35], v[2:3], v[14:15]
	v_fma_f64 v[34:35], v[0:1], v[12:13], -v[34:35]
	v_mul_f64 v[0:1], v[0:1], v[14:15]
	v_fmac_f64_e32 v[0:1], v[2:3], v[12:13]
	v_add_f64 v[10:11], v[10:11], v[0:1]
	s_waitcnt lgkmcnt(0)
	v_mul_f64 v[0:1], v[6:7], v[32:33]
	v_mul_f64 v[14:15], v[4:5], v[32:33]
	v_fma_f64 v[12:13], v[4:5], v[30:31], -v[0:1]
	v_fmac_f64_e32 v[14:15], v[6:7], v[30:31]
	ds_read_b128 v[0:3], v39 offset:2048
	ds_read_b128 v[4:7], v17 offset:64
	v_add_f64 v[8:9], v[8:9], v[34:35]
	v_add_f64 v[30:31], v[8:9], v[12:13]
	;; [unrolled: 1-line block ×3, first 2 shown]
	ds_read_b128 v[8:11], v39 offset:2560
	ds_read_b128 v[12:15], v17 offset:80
	s_waitcnt lgkmcnt(2)
	v_mul_f64 v[34:35], v[2:3], v[6:7]
	v_fma_f64 v[34:35], v[0:1], v[4:5], -v[34:35]
	v_mul_f64 v[0:1], v[0:1], v[6:7]
	v_fmac_f64_e32 v[0:1], v[2:3], v[4:5]
	v_add_f64 v[32:33], v[32:33], v[0:1]
	s_waitcnt lgkmcnt(0)
	v_mul_f64 v[0:1], v[10:11], v[14:15]
	v_add_f64 v[30:31], v[30:31], v[34:35]
	v_fma_f64 v[34:35], v[8:9], v[12:13], -v[0:1]
	ds_read_b128 v[0:3], v39 offset:3072
	ds_read_b128 v[4:7], v17 offset:96
	v_mul_f64 v[8:9], v[8:9], v[14:15]
	v_fmac_f64_e32 v[8:9], v[10:11], v[12:13]
	v_add_f64 v[32:33], v[32:33], v[8:9]
	ds_read_b128 v[8:11], v39 offset:3584
	ds_read_b128 v[12:15], v17 offset:112
	v_add_f64 v[30:31], v[30:31], v[34:35]
	s_waitcnt lgkmcnt(2)
	v_mul_f64 v[34:35], v[2:3], v[6:7]
	v_fma_f64 v[34:35], v[0:1], v[4:5], -v[34:35]
	v_mul_f64 v[0:1], v[0:1], v[6:7]
	v_fmac_f64_e32 v[0:1], v[2:3], v[4:5]
	v_add_f64 v[32:33], v[32:33], v[0:1]
	s_waitcnt lgkmcnt(0)
	v_mul_f64 v[0:1], v[10:11], v[14:15]
	v_add_f64 v[30:31], v[30:31], v[34:35]
	v_fma_f64 v[34:35], v[8:9], v[12:13], -v[0:1]
	ds_read_b128 v[0:3], v39 offset:4096
	ds_read_b128 v[4:7], v17 offset:128
	v_mul_f64 v[8:9], v[8:9], v[14:15]
	v_fmac_f64_e32 v[8:9], v[10:11], v[12:13]
	v_add_f64 v[32:33], v[32:33], v[8:9]
	ds_read_b128 v[8:11], v39 offset:4608
	ds_read_b128 v[12:15], v17 offset:144
	v_add_f64 v[30:31], v[30:31], v[34:35]
	;; [unrolled: 18-line block ×8, first 2 shown]
	s_waitcnt lgkmcnt(2)
	v_mul_f64 v[34:35], v[2:3], v[6:7]
	v_fma_f64 v[34:35], v[0:1], v[4:5], -v[34:35]
	v_mul_f64 v[0:1], v[0:1], v[6:7]
	v_fmac_f64_e32 v[0:1], v[2:3], v[4:5]
	v_add_f64 v[32:33], v[32:33], v[0:1]
	s_waitcnt lgkmcnt(0)
	v_mul_f64 v[0:1], v[10:11], v[14:15]
	v_add_f64 v[30:31], v[30:31], v[34:35]
	v_fma_f64 v[34:35], v[8:9], v[12:13], -v[0:1]
	v_mul_f64 v[8:9], v[8:9], v[14:15]
	v_fmac_f64_e32 v[8:9], v[10:11], v[12:13]
	ds_read_b128 v[0:3], v39 offset:11264
	ds_read_b128 v[4:7], v17 offset:352
	v_add_f64 v[32:33], v[32:33], v[8:9]
	ds_read_b128 v[8:11], v39 offset:11776
	ds_read_b128 v[12:15], v17 offset:368
	flat_load_dwordx4 v[42:45], v[28:29]
	v_add_f64 v[30:31], v[30:31], v[34:35]
	s_waitcnt lgkmcnt(0)
	v_mul_f64 v[34:35], v[2:3], v[6:7]
	v_fma_f64 v[34:35], v[0:1], v[4:5], -v[34:35]
	v_mul_f64 v[0:1], v[0:1], v[6:7]
	v_fmac_f64_e32 v[0:1], v[2:3], v[4:5]
	v_add_f64 v[32:33], v[32:33], v[0:1]
	v_mul_f64 v[0:1], v[10:11], v[14:15]
	v_add_f64 v[30:31], v[30:31], v[34:35]
	v_fma_f64 v[34:35], v[8:9], v[12:13], -v[0:1]
	ds_read_b128 v[0:3], v39 offset:12288
	ds_read_b128 v[4:7], v17 offset:384
	v_mul_f64 v[8:9], v[8:9], v[14:15]
	v_fmac_f64_e32 v[8:9], v[10:11], v[12:13]
	v_add_f64 v[32:33], v[32:33], v[8:9]
	ds_read_b128 v[8:11], v39 offset:12800
	ds_read_b128 v[12:15], v17 offset:400
	v_add_f64 v[30:31], v[30:31], v[34:35]
	s_waitcnt lgkmcnt(0)
	v_mul_f64 v[34:35], v[2:3], v[6:7]
	v_fma_f64 v[34:35], v[0:1], v[4:5], -v[34:35]
	v_mul_f64 v[0:1], v[0:1], v[6:7]
	v_fmac_f64_e32 v[0:1], v[2:3], v[4:5]
	v_add_f64 v[32:33], v[32:33], v[0:1]
	v_mul_f64 v[0:1], v[10:11], v[14:15]
	v_add_f64 v[30:31], v[30:31], v[34:35]
	v_fma_f64 v[34:35], v[8:9], v[12:13], -v[0:1]
	ds_read_b128 v[0:3], v39 offset:13312
	ds_read_b128 v[4:7], v17 offset:416
	v_mul_f64 v[8:9], v[8:9], v[14:15]
	v_fmac_f64_e32 v[8:9], v[10:11], v[12:13]
	v_add_f64 v[32:33], v[32:33], v[8:9]
	ds_read_b128 v[8:11], v39 offset:13824
	ds_read_b128 v[12:15], v17 offset:432
	;; [unrolled: 17-line block ×3, first 2 shown]
	v_add_f64 v[30:31], v[30:31], v[34:35]
	s_waitcnt lgkmcnt(0)
	v_mul_f64 v[34:35], v[2:3], v[6:7]
	v_fma_f64 v[34:35], v[0:1], v[4:5], -v[34:35]
	v_mul_f64 v[0:1], v[0:1], v[6:7]
	v_fmac_f64_e32 v[0:1], v[2:3], v[4:5]
	v_add_f64 v[32:33], v[32:33], v[0:1]
	v_mul_f64 v[0:1], v[10:11], v[14:15]
	v_add_f64 v[30:31], v[30:31], v[34:35]
	v_fma_f64 v[34:35], v[8:9], v[12:13], -v[0:1]
	v_mul_f64 v[8:9], v[8:9], v[14:15]
	ds_read_b128 v[0:3], v39 offset:15360
	ds_read_b128 v[4:7], v17 offset:480
	v_fmac_f64_e32 v[8:9], v[10:11], v[12:13]
	v_add_f64 v[32:33], v[32:33], v[8:9]
	ds_read_b128 v[8:11], v39 offset:15872
	ds_read_b128 v[12:15], v17 offset:496
	v_add_f64 v[30:31], v[30:31], v[34:35]
	s_waitcnt lgkmcnt(0)
	v_mul_f64 v[34:35], v[2:3], v[6:7]
	v_fma_f64 v[34:35], v[0:1], v[4:5], -v[34:35]
	v_mul_f64 v[0:1], v[0:1], v[6:7]
	v_fmac_f64_e32 v[0:1], v[2:3], v[4:5]
	v_mul_f64 v[6:7], v[8:9], v[14:15]
	v_add_f64 v[0:1], v[32:33], v[0:1]
	v_mul_f64 v[4:5], v[10:11], v[14:15]
	v_fmac_f64_e32 v[6:7], v[10:11], v[12:13]
	v_add_f64 v[2:3], v[30:31], v[34:35]
	v_fma_f64 v[4:5], v[8:9], v[12:13], -v[4:5]
	v_add_f64 v[0:1], v[0:1], v[6:7]
	v_add_f64 v[2:3], v[2:3], v[4:5]
	v_mul_f64 v[4:5], s[18:19], v[0:1]
	v_fma_f64 v[4:5], s[16:17], v[2:3], -v[4:5]
	v_mul_f64 v[2:3], s[18:19], v[2:3]
	v_fmac_f64_e32 v[2:3], s[16:17], v[0:1]
	s_waitcnt vmcnt(0)
	v_add_f64 v[0:1], v[42:43], v[4:5]
	v_add_f64 v[2:3], v[44:45], v[2:3]
	flat_store_dwordx4 v[28:29], v[0:3]
	s_branch .LBB60_6
.LBB60_21:
	s_endpgm
	.section	.rodata,"a",@progbits
	.p2align	6, 0x0
	.amdhsa_kernel _ZL24rocblas_symm_hemm_kernelILb1ELb0ELi32EPK19rocblas_complex_numIdEPKS3_PKPS1_EvbiiT2_T3_lllSA_lllT4_llli
		.amdhsa_group_segment_fixed_size 32768
		.amdhsa_private_segment_fixed_size 0
		.amdhsa_kernarg_size 384
		.amdhsa_user_sgpr_count 2
		.amdhsa_user_sgpr_dispatch_ptr 0
		.amdhsa_user_sgpr_queue_ptr 0
		.amdhsa_user_sgpr_kernarg_segment_ptr 1
		.amdhsa_user_sgpr_dispatch_id 0
		.amdhsa_user_sgpr_kernarg_preload_length 0
		.amdhsa_user_sgpr_kernarg_preload_offset 0
		.amdhsa_user_sgpr_private_segment_size 0
		.amdhsa_uses_dynamic_stack 0
		.amdhsa_enable_private_segment 0
		.amdhsa_system_sgpr_workgroup_id_x 1
		.amdhsa_system_sgpr_workgroup_id_y 1
		.amdhsa_system_sgpr_workgroup_id_z 1
		.amdhsa_system_sgpr_workgroup_info 0
		.amdhsa_system_vgpr_workitem_id 1
		.amdhsa_next_free_vgpr 46
		.amdhsa_next_free_sgpr 36
		.amdhsa_accum_offset 48
		.amdhsa_reserve_vcc 1
		.amdhsa_float_round_mode_32 0
		.amdhsa_float_round_mode_16_64 0
		.amdhsa_float_denorm_mode_32 3
		.amdhsa_float_denorm_mode_16_64 3
		.amdhsa_dx10_clamp 1
		.amdhsa_ieee_mode 1
		.amdhsa_fp16_overflow 0
		.amdhsa_tg_split 0
		.amdhsa_exception_fp_ieee_invalid_op 0
		.amdhsa_exception_fp_denorm_src 0
		.amdhsa_exception_fp_ieee_div_zero 0
		.amdhsa_exception_fp_ieee_overflow 0
		.amdhsa_exception_fp_ieee_underflow 0
		.amdhsa_exception_fp_ieee_inexact 0
		.amdhsa_exception_int_div_zero 0
	.end_amdhsa_kernel
	.section	.text._ZL24rocblas_symm_hemm_kernelILb1ELb0ELi32EPK19rocblas_complex_numIdEPKS3_PKPS1_EvbiiT2_T3_lllSA_lllT4_llli,"axG",@progbits,_ZL24rocblas_symm_hemm_kernelILb1ELb0ELi32EPK19rocblas_complex_numIdEPKS3_PKPS1_EvbiiT2_T3_lllSA_lllT4_llli,comdat
.Lfunc_end60:
	.size	_ZL24rocblas_symm_hemm_kernelILb1ELb0ELi32EPK19rocblas_complex_numIdEPKS3_PKPS1_EvbiiT2_T3_lllSA_lllT4_llli, .Lfunc_end60-_ZL24rocblas_symm_hemm_kernelILb1ELb0ELi32EPK19rocblas_complex_numIdEPKS3_PKPS1_EvbiiT2_T3_lllSA_lllT4_llli
                                        ; -- End function
	.set _ZL24rocblas_symm_hemm_kernelILb1ELb0ELi32EPK19rocblas_complex_numIdEPKS3_PKPS1_EvbiiT2_T3_lllSA_lllT4_llli.num_vgpr, 46
	.set _ZL24rocblas_symm_hemm_kernelILb1ELb0ELi32EPK19rocblas_complex_numIdEPKS3_PKPS1_EvbiiT2_T3_lllSA_lllT4_llli.num_agpr, 0
	.set _ZL24rocblas_symm_hemm_kernelILb1ELb0ELi32EPK19rocblas_complex_numIdEPKS3_PKPS1_EvbiiT2_T3_lllSA_lllT4_llli.numbered_sgpr, 36
	.set _ZL24rocblas_symm_hemm_kernelILb1ELb0ELi32EPK19rocblas_complex_numIdEPKS3_PKPS1_EvbiiT2_T3_lllSA_lllT4_llli.num_named_barrier, 0
	.set _ZL24rocblas_symm_hemm_kernelILb1ELb0ELi32EPK19rocblas_complex_numIdEPKS3_PKPS1_EvbiiT2_T3_lllSA_lllT4_llli.private_seg_size, 0
	.set _ZL24rocblas_symm_hemm_kernelILb1ELb0ELi32EPK19rocblas_complex_numIdEPKS3_PKPS1_EvbiiT2_T3_lllSA_lllT4_llli.uses_vcc, 1
	.set _ZL24rocblas_symm_hemm_kernelILb1ELb0ELi32EPK19rocblas_complex_numIdEPKS3_PKPS1_EvbiiT2_T3_lllSA_lllT4_llli.uses_flat_scratch, 0
	.set _ZL24rocblas_symm_hemm_kernelILb1ELb0ELi32EPK19rocblas_complex_numIdEPKS3_PKPS1_EvbiiT2_T3_lllSA_lllT4_llli.has_dyn_sized_stack, 0
	.set _ZL24rocblas_symm_hemm_kernelILb1ELb0ELi32EPK19rocblas_complex_numIdEPKS3_PKPS1_EvbiiT2_T3_lllSA_lllT4_llli.has_recursion, 0
	.set _ZL24rocblas_symm_hemm_kernelILb1ELb0ELi32EPK19rocblas_complex_numIdEPKS3_PKPS1_EvbiiT2_T3_lllSA_lllT4_llli.has_indirect_call, 0
	.section	.AMDGPU.csdata,"",@progbits
; Kernel info:
; codeLenInByte = 3008
; TotalNumSgprs: 42
; NumVgprs: 46
; NumAgprs: 0
; TotalNumVgprs: 46
; ScratchSize: 0
; MemoryBound: 1
; FloatMode: 240
; IeeeMode: 1
; LDSByteSize: 32768 bytes/workgroup (compile time only)
; SGPRBlocks: 5
; VGPRBlocks: 5
; NumSGPRsForWavesPerEU: 42
; NumVGPRsForWavesPerEU: 46
; AccumOffset: 48
; Occupancy: 8
; WaveLimiterHint : 1
; COMPUTE_PGM_RSRC2:SCRATCH_EN: 0
; COMPUTE_PGM_RSRC2:USER_SGPR: 2
; COMPUTE_PGM_RSRC2:TRAP_HANDLER: 0
; COMPUTE_PGM_RSRC2:TGID_X_EN: 1
; COMPUTE_PGM_RSRC2:TGID_Y_EN: 1
; COMPUTE_PGM_RSRC2:TGID_Z_EN: 1
; COMPUTE_PGM_RSRC2:TIDIG_COMP_CNT: 1
; COMPUTE_PGM_RSRC3_GFX90A:ACCUM_OFFSET: 11
; COMPUTE_PGM_RSRC3_GFX90A:TG_SPLIT: 0
	.section	.text._ZL24rocblas_symm_hemm_kernelILb1ELb1ELi32EPK19rocblas_complex_numIdEPKS3_PKPS1_EvbiiT2_T3_lllSA_lllT4_llli,"axG",@progbits,_ZL24rocblas_symm_hemm_kernelILb1ELb1ELi32EPK19rocblas_complex_numIdEPKS3_PKPS1_EvbiiT2_T3_lllSA_lllT4_llli,comdat
	.globl	_ZL24rocblas_symm_hemm_kernelILb1ELb1ELi32EPK19rocblas_complex_numIdEPKS3_PKPS1_EvbiiT2_T3_lllSA_lllT4_llli ; -- Begin function _ZL24rocblas_symm_hemm_kernelILb1ELb1ELi32EPK19rocblas_complex_numIdEPKS3_PKPS1_EvbiiT2_T3_lllSA_lllT4_llli
	.p2align	8
	.type	_ZL24rocblas_symm_hemm_kernelILb1ELb1ELi32EPK19rocblas_complex_numIdEPKS3_PKPS1_EvbiiT2_T3_lllSA_lllT4_llli,@function
_ZL24rocblas_symm_hemm_kernelILb1ELb1ELi32EPK19rocblas_complex_numIdEPKS3_PKPS1_EvbiiT2_T3_lllSA_lllT4_llli: ; @_ZL24rocblas_symm_hemm_kernelILb1ELb1ELi32EPK19rocblas_complex_numIdEPKS3_PKPS1_EvbiiT2_T3_lllSA_lllT4_llli
; %bb.0:
	s_load_dwordx8 s[8:15], s[0:1], 0x10
	s_waitcnt lgkmcnt(0)
	s_load_dwordx4 s[16:19], s[8:9], 0x0
	s_waitcnt lgkmcnt(0)
	v_cmp_eq_f64_e64 s[6:7], s[16:17], 0
	v_cmp_eq_f64_e64 s[8:9], s[18:19], 0
	s_and_b64 s[6:7], s[6:7], s[8:9]
	s_and_b64 vcc, exec, s[6:7]
	s_cbranch_vccnz .LBB61_21
; %bb.1:
	s_load_dwordx4 s[20:23], s[0:1], 0x0
	s_waitcnt lgkmcnt(0)
	s_add_i32 s5, s22, -1
	s_ashr_i32 s6, s5, 31
	s_lshr_b32 s6, s6, 27
	s_add_i32 s5, s5, s6
	s_ashr_i32 s23, s5, 5
	s_cmp_gt_i32 s3, s23
	s_cbranch_scc1 .LBB61_21
; %bb.2:
	s_mov_b32 s5, 0
	s_lshl_b64 s[4:5], s[4:5], 3
	s_add_u32 s6, s10, s4
	s_addc_u32 s7, s11, s5
	s_load_dwordx2 s[8:9], s[6:7], 0x0
	s_load_dwordx4 s[28:31], s[0:1], 0x38
	s_load_dwordx2 s[10:11], s[0:1], 0x48
	s_load_dwordx4 s[36:39], s[0:1], 0x58
	s_load_dwordx2 s[24:25], s[0:1], 0x68
	s_lshl_b64 s[6:7], s[12:13], 4
	s_waitcnt lgkmcnt(0)
	s_add_u32 s12, s8, s6
	s_addc_u32 s13, s9, s7
	s_add_u32 s6, s28, s4
	s_addc_u32 s7, s29, s5
	;; [unrolled: 2-line block ×3, first 2 shown]
	s_load_dwordx2 s[8:9], s[4:5], 0x0
	s_load_dwordx2 s[26:27], s[6:7], 0x0
	s_bitcmp1_b32 s20, 0
	s_cselect_b64 s[6:7], -1, 0
	s_lshl_b64 s[4:5], s[38:39], 4
	s_waitcnt lgkmcnt(0)
	s_add_u32 s4, s8, s4
	s_addc_u32 s5, s9, s5
	s_lshl_b64 s[8:9], s[30:31], 4
	v_and_b32_e32 v36, 0x3ff, v0
	s_add_u32 s26, s26, s8
	v_lshl_add_u32 v2, s2, 5, v36
	s_load_dword s2, s[0:1], 0x84
	s_addc_u32 s27, s27, s9
	v_ashrrev_i32_e32 v3, 31, v2
	v_bfe_u32 v37, v0, 10, 10
	s_cmp_gt_i32 s22, 0
	v_lshlrev_b64 v[0:1], 4, v[2:3]
	s_cselect_b64 s[28:29], -1, 0
	v_cmp_gt_i32_e64 s[8:9], s21, v2
	v_lshl_add_u64 v[16:17], s[26:27], 0, v[0:1]
	v_lshlrev_b32_e32 v2, 4, v37
	v_lshl_add_u64 v[18:19], s[4:5], 0, v[0:1]
	v_lshl_add_u32 v0, s3, 5, v37
	v_lshlrev_b32_e32 v38, 9, v36
	v_or_b32_e32 v40, 0x4000, v2
	v_sub_u32_e32 v42, 0, v0
	v_cndmask_b32_e64 v0, 0, 1, s[28:29]
	v_add_u32_e32 v39, v38, v2
	v_add_u32_e32 v41, v40, v38
	s_waitcnt lgkmcnt(0)
	s_lshl_b32 s30, s2, 5
	v_cmp_ne_u32_e64 s[4:5], 1, v0
	s_branch .LBB61_4
.LBB61_3:                               ;   in Loop: Header=BB61_4 Depth=1
	s_add_i32 s3, s3, s2
	s_cmp_gt_i32 s3, s23
	v_subrev_u32_e32 v42, s30, v42
	s_cbranch_scc1 .LBB61_21
.LBB61_4:                               ; =>This Loop Header: Depth=1
                                        ;     Child Loop BB61_7 Depth 2
	s_and_b64 vcc, exec, s[4:5]
	s_cbranch_vccnz .LBB61_3
; %bb.5:                                ;   in Loop: Header=BB61_4 Depth=1
	v_lshl_add_u32 v20, s3, 5, v37
	v_ashrrev_i32_e32 v21, 31, v20
	v_mul_lo_u32 v2, s14, v21
	v_mul_lo_u32 v3, s15, v20
	v_mad_u64_u32 v[0:1], s[0:1], s14, v20, 0
	v_add3_u32 v1, v1, v2, v3
	v_mul_lo_u32 v4, s24, v21
	v_mul_lo_u32 v5, s25, v20
	v_mad_u64_u32 v[2:3], s[0:1], s24, v20, 0
	v_lshl_add_u64 v[22:23], v[0:1], 4, s[12:13]
	v_lshlrev_b64 v[0:1], 4, v[20:21]
	v_cmp_gt_i32_e32 vcc, s22, v20
	v_add3_u32 v3, v3, v4, v5
	v_lshl_add_u64 v[24:25], s[12:13], 0, v[0:1]
	s_and_b64 s[20:21], s[8:9], vcc
	v_lshl_add_u64 v[26:27], v[2:3], 4, v[18:19]
	v_lshl_add_u64 v[28:29], v[22:23], 0, v[0:1]
	v_add_u32_e32 v21, v36, v42
	s_mov_b32 s31, 0
	s_branch .LBB61_7
.LBB61_6:                               ;   in Loop: Header=BB61_7 Depth=2
	s_or_b64 exec, exec, s[0:1]
	s_add_i32 s31, s31, 32
	s_cmp_ge_i32 s31, s22
	s_waitcnt lgkmcnt(0)
	s_barrier
	s_cbranch_scc1 .LBB61_3
.LBB61_7:                               ;   Parent Loop BB61_4 Depth=1
                                        ; =>  This Inner Loop Header: Depth=2
	v_add_u32_e32 v6, s31, v37
	v_cmp_gt_i32_e32 vcc, s22, v6
	s_and_b64 s[26:27], s[8:9], vcc
	v_mov_b64_e32 v[0:1], 0
	v_mov_b64_e32 v[2:3], 0
	;; [unrolled: 1-line block ×3, first 2 shown]
	s_and_saveexec_b64 s[0:1], s[26:27]
	s_cbranch_execz .LBB61_9
; %bb.8:                                ;   in Loop: Header=BB61_7 Depth=2
	v_ashrrev_i32_e32 v2, 31, v6
	v_mul_lo_u32 v4, s11, v6
	v_mul_lo_u32 v5, s10, v2
	v_mad_u64_u32 v[2:3], s[26:27], s10, v6, 0
	v_add3_u32 v3, v3, v5, v4
	v_lshl_add_u64 v[2:3], v[2:3], 4, v[16:17]
	flat_load_dwordx4 v[2:5], v[2:3]
.LBB61_9:                               ;   in Loop: Header=BB61_7 Depth=2
	s_or_b64 exec, exec, s[0:1]
	s_waitcnt vmcnt(0) lgkmcnt(0)
	ds_write_b128 v39, v[2:5]
	v_add_u32_e32 v4, s31, v36
	v_cndmask_b32_e64 v2, v20, v4, s[6:7]
	v_cndmask_b32_e64 v3, v4, v20, s[6:7]
	v_cmp_gt_i32_e64 s[0:1], v2, v3
	v_cmp_le_i32_e32 vcc, v2, v3
	s_nop 0
	v_cndmask_b32_e64 v2, v4, v20, s[0:1]
	v_cndmask_b32_e64 v3, v20, v4, s[0:1]
	v_max_i32_e32 v2, v2, v3
	v_cmp_gt_i32_e64 s[0:1], s22, v2
	v_mov_b64_e32 v[2:3], 0
	s_and_saveexec_b64 s[26:27], s[0:1]
	s_cbranch_execz .LBB61_19
; %bb.10:                               ;   in Loop: Header=BB61_7 Depth=2
                                        ; implicit-def: $vgpr2_vgpr3
	s_and_saveexec_b64 s[0:1], vcc
	s_xor_b64 s[0:1], exec, s[0:1]
	s_cbranch_execz .LBB61_16
; %bb.11:                               ;   in Loop: Header=BB61_7 Depth=2
	v_add_u32_e32 v0, s31, v21
	v_cmp_ne_u32_e32 vcc, 0, v0
                                        ; implicit-def: $vgpr2_vgpr3
	s_and_saveexec_b64 s[28:29], vcc
	s_xor_b64 s[28:29], exec, s[28:29]
	s_cbranch_execz .LBB61_13
; %bb.12:                               ;   in Loop: Header=BB61_7 Depth=2
	v_ashrrev_i32_e32 v5, 31, v4
	v_lshl_add_u64 v[0:1], v[4:5], 4, v[22:23]
	flat_load_dwordx4 v[0:3], v[0:1]
.LBB61_13:                              ;   in Loop: Header=BB61_7 Depth=2
	s_andn2_saveexec_b64 s[28:29], s[28:29]
	s_cbranch_execz .LBB61_15
; %bb.14:                               ;   in Loop: Header=BB61_7 Depth=2
	s_waitcnt vmcnt(0) lgkmcnt(0)
	flat_load_dwordx2 v[0:1], v[28:29]
	v_mov_b64_e32 v[2:3], 0
.LBB61_15:                              ;   in Loop: Header=BB61_7 Depth=2
	s_or_b64 exec, exec, s[28:29]
                                        ; implicit-def: $vgpr4
.LBB61_16:                              ;   in Loop: Header=BB61_7 Depth=2
	s_andn2_saveexec_b64 s[0:1], s[0:1]
	s_cbranch_execz .LBB61_18
; %bb.17:                               ;   in Loop: Header=BB61_7 Depth=2
	s_waitcnt vmcnt(0) lgkmcnt(0)
	v_ashrrev_i32_e32 v0, 31, v4
	v_mul_lo_u32 v2, s15, v4
	v_mul_lo_u32 v3, s14, v0
	v_mad_u64_u32 v[0:1], s[28:29], s14, v4, 0
	v_add3_u32 v1, v1, v3, v2
	v_lshl_add_u64 v[0:1], v[0:1], 4, v[24:25]
	flat_load_dwordx4 v[0:3], v[0:1]
	s_waitcnt vmcnt(0) lgkmcnt(0)
	v_xor_b32_e32 v3, 0x80000000, v3
.LBB61_18:                              ;   in Loop: Header=BB61_7 Depth=2
	s_or_b64 exec, exec, s[0:1]
.LBB61_19:                              ;   in Loop: Header=BB61_7 Depth=2
	s_or_b64 exec, exec, s[26:27]
	s_waitcnt vmcnt(0) lgkmcnt(0)
	ds_write_b128 v41, v[0:3]
	s_waitcnt lgkmcnt(0)
	s_barrier
	s_and_saveexec_b64 s[0:1], s[20:21]
	s_cbranch_execz .LBB61_6
; %bb.20:                               ;   in Loop: Header=BB61_7 Depth=2
	ds_read_b128 v[0:3], v40
	ds_read_b128 v[4:7], v38
	ds_read_b128 v[8:11], v38 offset:16
	ds_read_b128 v[12:15], v38 offset:32
	;; [unrolled: 1-line block ×4, first 2 shown]
	s_waitcnt lgkmcnt(4)
	v_mul_f64 v[34:35], v[2:3], v[6:7]
	v_fma_f64 v[34:35], v[0:1], v[4:5], -v[34:35]
	v_mul_f64 v[0:1], v[0:1], v[6:7]
	v_fmac_f64_e32 v[0:1], v[2:3], v[4:5]
	v_add_f64 v[6:7], v[0:1], 0
	s_waitcnt lgkmcnt(0)
	v_mul_f64 v[0:1], v[46:47], v[10:11]
	v_add_f64 v[4:5], v[34:35], 0
	v_fma_f64 v[34:35], v[44:45], v[8:9], -v[0:1]
	ds_read_b128 v[0:3], v40 offset:1024
	v_mul_f64 v[10:11], v[44:45], v[10:11]
	v_fmac_f64_e32 v[10:11], v[46:47], v[8:9]
	v_add_f64 v[8:9], v[4:5], v[34:35]
	v_add_f64 v[10:11], v[6:7], v[10:11]
	ds_read_b128 v[4:7], v40 offset:1536
	s_waitcnt lgkmcnt(1)
	v_mul_f64 v[34:35], v[2:3], v[14:15]
	v_fma_f64 v[34:35], v[0:1], v[12:13], -v[34:35]
	v_mul_f64 v[0:1], v[0:1], v[14:15]
	v_fmac_f64_e32 v[0:1], v[2:3], v[12:13]
	v_add_f64 v[10:11], v[10:11], v[0:1]
	s_waitcnt lgkmcnt(0)
	v_mul_f64 v[0:1], v[6:7], v[32:33]
	v_mul_f64 v[14:15], v[4:5], v[32:33]
	v_fma_f64 v[12:13], v[4:5], v[30:31], -v[0:1]
	v_fmac_f64_e32 v[14:15], v[6:7], v[30:31]
	ds_read_b128 v[0:3], v40 offset:2048
	ds_read_b128 v[4:7], v38 offset:64
	v_add_f64 v[8:9], v[8:9], v[34:35]
	v_add_f64 v[30:31], v[8:9], v[12:13]
	;; [unrolled: 1-line block ×3, first 2 shown]
	ds_read_b128 v[8:11], v40 offset:2560
	ds_read_b128 v[12:15], v38 offset:80
	s_waitcnt lgkmcnt(2)
	v_mul_f64 v[34:35], v[2:3], v[6:7]
	v_fma_f64 v[34:35], v[0:1], v[4:5], -v[34:35]
	v_mul_f64 v[0:1], v[0:1], v[6:7]
	v_fmac_f64_e32 v[0:1], v[2:3], v[4:5]
	v_add_f64 v[32:33], v[32:33], v[0:1]
	s_waitcnt lgkmcnt(0)
	v_mul_f64 v[0:1], v[10:11], v[14:15]
	v_add_f64 v[30:31], v[30:31], v[34:35]
	v_fma_f64 v[34:35], v[8:9], v[12:13], -v[0:1]
	ds_read_b128 v[0:3], v40 offset:3072
	ds_read_b128 v[4:7], v38 offset:96
	v_mul_f64 v[8:9], v[8:9], v[14:15]
	v_fmac_f64_e32 v[8:9], v[10:11], v[12:13]
	v_add_f64 v[32:33], v[32:33], v[8:9]
	ds_read_b128 v[8:11], v40 offset:3584
	ds_read_b128 v[12:15], v38 offset:112
	v_add_f64 v[30:31], v[30:31], v[34:35]
	s_waitcnt lgkmcnt(2)
	v_mul_f64 v[34:35], v[2:3], v[6:7]
	v_fma_f64 v[34:35], v[0:1], v[4:5], -v[34:35]
	v_mul_f64 v[0:1], v[0:1], v[6:7]
	v_fmac_f64_e32 v[0:1], v[2:3], v[4:5]
	v_add_f64 v[32:33], v[32:33], v[0:1]
	s_waitcnt lgkmcnt(0)
	v_mul_f64 v[0:1], v[10:11], v[14:15]
	v_add_f64 v[30:31], v[30:31], v[34:35]
	v_fma_f64 v[34:35], v[8:9], v[12:13], -v[0:1]
	ds_read_b128 v[0:3], v40 offset:4096
	ds_read_b128 v[4:7], v38 offset:128
	v_mul_f64 v[8:9], v[8:9], v[14:15]
	v_fmac_f64_e32 v[8:9], v[10:11], v[12:13]
	v_add_f64 v[32:33], v[32:33], v[8:9]
	ds_read_b128 v[8:11], v40 offset:4608
	ds_read_b128 v[12:15], v38 offset:144
	v_add_f64 v[30:31], v[30:31], v[34:35]
	;; [unrolled: 18-line block ×8, first 2 shown]
	s_waitcnt lgkmcnt(2)
	v_mul_f64 v[34:35], v[2:3], v[6:7]
	v_fma_f64 v[34:35], v[0:1], v[4:5], -v[34:35]
	v_mul_f64 v[0:1], v[0:1], v[6:7]
	v_fmac_f64_e32 v[0:1], v[2:3], v[4:5]
	v_add_f64 v[32:33], v[32:33], v[0:1]
	s_waitcnt lgkmcnt(0)
	v_mul_f64 v[0:1], v[10:11], v[14:15]
	v_add_f64 v[30:31], v[30:31], v[34:35]
	v_fma_f64 v[34:35], v[8:9], v[12:13], -v[0:1]
	v_mul_f64 v[8:9], v[8:9], v[14:15]
	v_fmac_f64_e32 v[8:9], v[10:11], v[12:13]
	ds_read_b128 v[0:3], v40 offset:11264
	ds_read_b128 v[4:7], v38 offset:352
	v_add_f64 v[32:33], v[32:33], v[8:9]
	ds_read_b128 v[8:11], v40 offset:11776
	ds_read_b128 v[12:15], v38 offset:368
	flat_load_dwordx4 v[44:47], v[26:27]
	v_add_f64 v[30:31], v[30:31], v[34:35]
	s_waitcnt lgkmcnt(0)
	v_mul_f64 v[34:35], v[2:3], v[6:7]
	v_fma_f64 v[34:35], v[0:1], v[4:5], -v[34:35]
	v_mul_f64 v[0:1], v[0:1], v[6:7]
	v_fmac_f64_e32 v[0:1], v[2:3], v[4:5]
	v_add_f64 v[32:33], v[32:33], v[0:1]
	v_mul_f64 v[0:1], v[10:11], v[14:15]
	v_add_f64 v[30:31], v[30:31], v[34:35]
	v_fma_f64 v[34:35], v[8:9], v[12:13], -v[0:1]
	ds_read_b128 v[0:3], v40 offset:12288
	ds_read_b128 v[4:7], v38 offset:384
	v_mul_f64 v[8:9], v[8:9], v[14:15]
	v_fmac_f64_e32 v[8:9], v[10:11], v[12:13]
	v_add_f64 v[32:33], v[32:33], v[8:9]
	ds_read_b128 v[8:11], v40 offset:12800
	ds_read_b128 v[12:15], v38 offset:400
	v_add_f64 v[30:31], v[30:31], v[34:35]
	s_waitcnt lgkmcnt(0)
	v_mul_f64 v[34:35], v[2:3], v[6:7]
	v_fma_f64 v[34:35], v[0:1], v[4:5], -v[34:35]
	v_mul_f64 v[0:1], v[0:1], v[6:7]
	v_fmac_f64_e32 v[0:1], v[2:3], v[4:5]
	v_add_f64 v[32:33], v[32:33], v[0:1]
	v_mul_f64 v[0:1], v[10:11], v[14:15]
	v_add_f64 v[30:31], v[30:31], v[34:35]
	v_fma_f64 v[34:35], v[8:9], v[12:13], -v[0:1]
	ds_read_b128 v[0:3], v40 offset:13312
	ds_read_b128 v[4:7], v38 offset:416
	v_mul_f64 v[8:9], v[8:9], v[14:15]
	v_fmac_f64_e32 v[8:9], v[10:11], v[12:13]
	v_add_f64 v[32:33], v[32:33], v[8:9]
	ds_read_b128 v[8:11], v40 offset:13824
	ds_read_b128 v[12:15], v38 offset:432
	;; [unrolled: 17-line block ×3, first 2 shown]
	v_add_f64 v[30:31], v[30:31], v[34:35]
	s_waitcnt lgkmcnt(0)
	v_mul_f64 v[34:35], v[2:3], v[6:7]
	v_fma_f64 v[34:35], v[0:1], v[4:5], -v[34:35]
	v_mul_f64 v[0:1], v[0:1], v[6:7]
	v_fmac_f64_e32 v[0:1], v[2:3], v[4:5]
	v_add_f64 v[32:33], v[32:33], v[0:1]
	v_mul_f64 v[0:1], v[10:11], v[14:15]
	v_add_f64 v[30:31], v[30:31], v[34:35]
	v_fma_f64 v[34:35], v[8:9], v[12:13], -v[0:1]
	v_mul_f64 v[8:9], v[8:9], v[14:15]
	ds_read_b128 v[0:3], v40 offset:15360
	ds_read_b128 v[4:7], v38 offset:480
	v_fmac_f64_e32 v[8:9], v[10:11], v[12:13]
	v_add_f64 v[32:33], v[32:33], v[8:9]
	ds_read_b128 v[8:11], v40 offset:15872
	ds_read_b128 v[12:15], v38 offset:496
	v_add_f64 v[30:31], v[30:31], v[34:35]
	s_waitcnt lgkmcnt(0)
	v_mul_f64 v[34:35], v[2:3], v[6:7]
	v_fma_f64 v[34:35], v[0:1], v[4:5], -v[34:35]
	v_mul_f64 v[0:1], v[0:1], v[6:7]
	v_fmac_f64_e32 v[0:1], v[2:3], v[4:5]
	v_mul_f64 v[6:7], v[8:9], v[14:15]
	v_add_f64 v[0:1], v[32:33], v[0:1]
	v_mul_f64 v[4:5], v[10:11], v[14:15]
	v_fmac_f64_e32 v[6:7], v[10:11], v[12:13]
	v_add_f64 v[2:3], v[30:31], v[34:35]
	v_fma_f64 v[4:5], v[8:9], v[12:13], -v[4:5]
	v_add_f64 v[0:1], v[0:1], v[6:7]
	v_add_f64 v[2:3], v[2:3], v[4:5]
	v_mul_f64 v[4:5], s[18:19], v[0:1]
	v_fma_f64 v[4:5], s[16:17], v[2:3], -v[4:5]
	v_mul_f64 v[2:3], s[18:19], v[2:3]
	v_fmac_f64_e32 v[2:3], s[16:17], v[0:1]
	s_waitcnt vmcnt(0)
	v_add_f64 v[0:1], v[44:45], v[4:5]
	v_add_f64 v[2:3], v[46:47], v[2:3]
	flat_store_dwordx4 v[26:27], v[0:3]
	s_branch .LBB61_6
.LBB61_21:
	s_endpgm
	.section	.rodata,"a",@progbits
	.p2align	6, 0x0
	.amdhsa_kernel _ZL24rocblas_symm_hemm_kernelILb1ELb1ELi32EPK19rocblas_complex_numIdEPKS3_PKPS1_EvbiiT2_T3_lllSA_lllT4_llli
		.amdhsa_group_segment_fixed_size 32768
		.amdhsa_private_segment_fixed_size 0
		.amdhsa_kernarg_size 384
		.amdhsa_user_sgpr_count 2
		.amdhsa_user_sgpr_dispatch_ptr 0
		.amdhsa_user_sgpr_queue_ptr 0
		.amdhsa_user_sgpr_kernarg_segment_ptr 1
		.amdhsa_user_sgpr_dispatch_id 0
		.amdhsa_user_sgpr_kernarg_preload_length 0
		.amdhsa_user_sgpr_kernarg_preload_offset 0
		.amdhsa_user_sgpr_private_segment_size 0
		.amdhsa_uses_dynamic_stack 0
		.amdhsa_enable_private_segment 0
		.amdhsa_system_sgpr_workgroup_id_x 1
		.amdhsa_system_sgpr_workgroup_id_y 1
		.amdhsa_system_sgpr_workgroup_id_z 1
		.amdhsa_system_sgpr_workgroup_info 0
		.amdhsa_system_vgpr_workitem_id 1
		.amdhsa_next_free_vgpr 48
		.amdhsa_next_free_sgpr 40
		.amdhsa_accum_offset 48
		.amdhsa_reserve_vcc 1
		.amdhsa_float_round_mode_32 0
		.amdhsa_float_round_mode_16_64 0
		.amdhsa_float_denorm_mode_32 3
		.amdhsa_float_denorm_mode_16_64 3
		.amdhsa_dx10_clamp 1
		.amdhsa_ieee_mode 1
		.amdhsa_fp16_overflow 0
		.amdhsa_tg_split 0
		.amdhsa_exception_fp_ieee_invalid_op 0
		.amdhsa_exception_fp_denorm_src 0
		.amdhsa_exception_fp_ieee_div_zero 0
		.amdhsa_exception_fp_ieee_overflow 0
		.amdhsa_exception_fp_ieee_underflow 0
		.amdhsa_exception_fp_ieee_inexact 0
		.amdhsa_exception_int_div_zero 0
	.end_amdhsa_kernel
	.section	.text._ZL24rocblas_symm_hemm_kernelILb1ELb1ELi32EPK19rocblas_complex_numIdEPKS3_PKPS1_EvbiiT2_T3_lllSA_lllT4_llli,"axG",@progbits,_ZL24rocblas_symm_hemm_kernelILb1ELb1ELi32EPK19rocblas_complex_numIdEPKS3_PKPS1_EvbiiT2_T3_lllSA_lllT4_llli,comdat
.Lfunc_end61:
	.size	_ZL24rocblas_symm_hemm_kernelILb1ELb1ELi32EPK19rocblas_complex_numIdEPKS3_PKPS1_EvbiiT2_T3_lllSA_lllT4_llli, .Lfunc_end61-_ZL24rocblas_symm_hemm_kernelILb1ELb1ELi32EPK19rocblas_complex_numIdEPKS3_PKPS1_EvbiiT2_T3_lllSA_lllT4_llli
                                        ; -- End function
	.set _ZL24rocblas_symm_hemm_kernelILb1ELb1ELi32EPK19rocblas_complex_numIdEPKS3_PKPS1_EvbiiT2_T3_lllSA_lllT4_llli.num_vgpr, 48
	.set _ZL24rocblas_symm_hemm_kernelILb1ELb1ELi32EPK19rocblas_complex_numIdEPKS3_PKPS1_EvbiiT2_T3_lllSA_lllT4_llli.num_agpr, 0
	.set _ZL24rocblas_symm_hemm_kernelILb1ELb1ELi32EPK19rocblas_complex_numIdEPKS3_PKPS1_EvbiiT2_T3_lllSA_lllT4_llli.numbered_sgpr, 40
	.set _ZL24rocblas_symm_hemm_kernelILb1ELb1ELi32EPK19rocblas_complex_numIdEPKS3_PKPS1_EvbiiT2_T3_lllSA_lllT4_llli.num_named_barrier, 0
	.set _ZL24rocblas_symm_hemm_kernelILb1ELb1ELi32EPK19rocblas_complex_numIdEPKS3_PKPS1_EvbiiT2_T3_lllSA_lllT4_llli.private_seg_size, 0
	.set _ZL24rocblas_symm_hemm_kernelILb1ELb1ELi32EPK19rocblas_complex_numIdEPKS3_PKPS1_EvbiiT2_T3_lllSA_lllT4_llli.uses_vcc, 1
	.set _ZL24rocblas_symm_hemm_kernelILb1ELb1ELi32EPK19rocblas_complex_numIdEPKS3_PKPS1_EvbiiT2_T3_lllSA_lllT4_llli.uses_flat_scratch, 0
	.set _ZL24rocblas_symm_hemm_kernelILb1ELb1ELi32EPK19rocblas_complex_numIdEPKS3_PKPS1_EvbiiT2_T3_lllSA_lllT4_llli.has_dyn_sized_stack, 0
	.set _ZL24rocblas_symm_hemm_kernelILb1ELb1ELi32EPK19rocblas_complex_numIdEPKS3_PKPS1_EvbiiT2_T3_lllSA_lllT4_llli.has_recursion, 0
	.set _ZL24rocblas_symm_hemm_kernelILb1ELb1ELi32EPK19rocblas_complex_numIdEPKS3_PKPS1_EvbiiT2_T3_lllSA_lllT4_llli.has_indirect_call, 0
	.section	.AMDGPU.csdata,"",@progbits
; Kernel info:
; codeLenInByte = 3024
; TotalNumSgprs: 46
; NumVgprs: 48
; NumAgprs: 0
; TotalNumVgprs: 48
; ScratchSize: 0
; MemoryBound: 1
; FloatMode: 240
; IeeeMode: 1
; LDSByteSize: 32768 bytes/workgroup (compile time only)
; SGPRBlocks: 5
; VGPRBlocks: 5
; NumSGPRsForWavesPerEU: 46
; NumVGPRsForWavesPerEU: 48
; AccumOffset: 48
; Occupancy: 8
; WaveLimiterHint : 1
; COMPUTE_PGM_RSRC2:SCRATCH_EN: 0
; COMPUTE_PGM_RSRC2:USER_SGPR: 2
; COMPUTE_PGM_RSRC2:TRAP_HANDLER: 0
; COMPUTE_PGM_RSRC2:TGID_X_EN: 1
; COMPUTE_PGM_RSRC2:TGID_Y_EN: 1
; COMPUTE_PGM_RSRC2:TGID_Z_EN: 1
; COMPUTE_PGM_RSRC2:TIDIG_COMP_CNT: 1
; COMPUTE_PGM_RSRC3_GFX90A:ACCUM_OFFSET: 11
; COMPUTE_PGM_RSRC3_GFX90A:TG_SPLIT: 0
	.section	.text._ZL24rocblas_symm_hemm_kernelILb1ELb0ELi32E19rocblas_complex_numIdEPKPKS1_PKPS1_EvbiiT2_T3_lllSA_lllT4_llli,"axG",@progbits,_ZL24rocblas_symm_hemm_kernelILb1ELb0ELi32E19rocblas_complex_numIdEPKPKS1_PKPS1_EvbiiT2_T3_lllSA_lllT4_llli,comdat
	.globl	_ZL24rocblas_symm_hemm_kernelILb1ELb0ELi32E19rocblas_complex_numIdEPKPKS1_PKPS1_EvbiiT2_T3_lllSA_lllT4_llli ; -- Begin function _ZL24rocblas_symm_hemm_kernelILb1ELb0ELi32E19rocblas_complex_numIdEPKPKS1_PKPS1_EvbiiT2_T3_lllSA_lllT4_llli
	.p2align	8
	.type	_ZL24rocblas_symm_hemm_kernelILb1ELb0ELi32E19rocblas_complex_numIdEPKPKS1_PKPS1_EvbiiT2_T3_lllSA_lllT4_llli,@function
_ZL24rocblas_symm_hemm_kernelILb1ELb0ELi32E19rocblas_complex_numIdEPKPKS1_PKPS1_EvbiiT2_T3_lllSA_lllT4_llli: ; @_ZL24rocblas_symm_hemm_kernelILb1ELb0ELi32E19rocblas_complex_numIdEPKPKS1_PKPS1_EvbiiT2_T3_lllSA_lllT4_llli
; %bb.0:
	s_load_dwordx8 s[12:19], s[0:1], 0x10
	s_waitcnt lgkmcnt(0)
	v_cmp_eq_f64_e64 s[6:7], s[12:13], 0
	v_cmp_eq_f64_e64 s[8:9], s[14:15], 0
	s_and_b64 s[6:7], s[6:7], s[8:9]
	s_and_b64 vcc, exec, s[6:7]
	s_cbranch_vccnz .LBB62_21
; %bb.1:
	s_load_dwordx4 s[20:23], s[0:1], 0x0
	s_waitcnt lgkmcnt(0)
	s_add_i32 s5, s22, -1
	s_ashr_i32 s6, s5, 31
	s_lshr_b32 s6, s6, 27
	s_add_i32 s5, s5, s6
	s_ashr_i32 s23, s5, 5
	s_cmp_gt_i32 s3, s23
	s_cbranch_scc1 .LBB62_21
; %bb.2:
	s_load_dwordx4 s[8:11], s[0:1], 0x40
	s_mov_b32 s5, 0
	s_lshl_b64 s[4:5], s[4:5], 3
	s_add_u32 s6, s16, s4
	s_addc_u32 s7, s17, s5
	s_waitcnt lgkmcnt(0)
	s_add_u32 s8, s8, s4
	s_addc_u32 s9, s9, s5
	s_load_dwordx2 s[26:27], s[8:9], 0x0
	s_load_dwordx2 s[16:17], s[0:1], 0x30
	s_load_dwordx4 s[28:31], s[0:1], 0x60
	s_load_dwordx2 s[24:25], s[0:1], 0x50
	s_lshl_b64 s[8:9], s[10:11], 4
	s_waitcnt lgkmcnt(0)
	s_add_u32 s26, s26, s8
	s_addc_u32 s27, s27, s9
	s_add_u32 s4, s28, s4
	s_addc_u32 s5, s29, s5
	s_load_dwordx2 s[8:9], s[4:5], 0x0
	s_load_dwordx2 s[10:11], s[6:7], 0x0
	s_bitcmp1_b32 s20, 0
	s_cselect_b64 s[6:7], -1, 0
	s_lshl_b64 s[4:5], s[30:31], 4
	s_waitcnt lgkmcnt(0)
	s_add_u32 s4, s8, s4
	s_addc_u32 s5, s9, s5
	s_lshl_b64 s[8:9], s[18:19], 4
	v_and_b32_e32 v36, 0x3ff, v0
	s_add_u32 s8, s10, s8
	v_lshl_add_u32 v16, s2, 5, v36
	s_addc_u32 s9, s11, s9
	v_ashrrev_i32_e32 v17, 31, v16
	s_load_dwordx2 s[18:19], s[0:1], 0x70
	s_load_dword s2, s[0:1], 0x8c
	v_bfe_u32 v37, v0, 10, 10
	s_cmp_gt_i32 s21, 0
	v_mul_lo_u32 v4, s16, v17
	v_mul_lo_u32 v5, s17, v16
	v_mad_u64_u32 v[2:3], s[10:11], s16, v16, 0
	v_lshlrev_b64 v[0:1], 4, v[16:17]
	v_add3_u32 v3, v3, v4, v5
	v_lshlrev_b32_e32 v4, 4, v37
	s_cselect_b64 s[0:1], -1, 0
	v_lshl_add_u64 v[18:19], s[8:9], 0, v[0:1]
	v_lshlrev_b64 v[2:3], 4, v[2:3]
	v_lshlrev_b32_e32 v17, 9, v36
	v_or_b32_e32 v39, 0x4000, v4
	v_lshl_add_u64 v[22:23], s[4:5], 0, v[0:1]
	v_cndmask_b32_e64 v0, 0, 1, s[0:1]
	v_lshl_add_u64 v[20:21], s[8:9], 0, v[2:3]
	v_add_u32_e32 v38, v17, v4
	v_add_u32_e32 v40, v39, v17
	v_cmp_gt_i32_e64 s[8:9], s21, v16
	v_lshl_add_u64 v[24:25], v[18:19], 0, v[2:3]
	v_cmp_ne_u32_e64 s[4:5], 1, v0
	s_branch .LBB62_4
.LBB62_3:                               ;   in Loop: Header=BB62_4 Depth=1
	s_waitcnt lgkmcnt(0)
	s_add_i32 s3, s3, s2
	s_cmp_gt_i32 s3, s23
	s_cbranch_scc1 .LBB62_21
.LBB62_4:                               ; =>This Loop Header: Depth=1
                                        ;     Child Loop BB62_7 Depth 2
	s_and_b64 vcc, exec, s[4:5]
	s_cbranch_vccnz .LBB62_3
; %bb.5:                                ;   in Loop: Header=BB62_4 Depth=1
	v_lshl_add_u32 v2, s3, 5, v37
	v_ashrrev_i32_e32 v3, 31, v2
	v_mul_lo_u32 v4, s24, v3
	v_mul_lo_u32 v5, s25, v2
	v_mad_u64_u32 v[0:1], s[0:1], s24, v2, 0
	v_add3_u32 v1, v1, v4, v5
	v_lshl_add_u64 v[26:27], v[0:1], 4, s[26:27]
	s_waitcnt lgkmcnt(0)
	v_mul_lo_u32 v3, s18, v3
	v_mul_lo_u32 v4, s19, v2
	v_mad_u64_u32 v[0:1], s[0:1], s18, v2, 0
	v_cmp_gt_i32_e32 vcc, s22, v2
	v_add3_u32 v1, v1, v3, v4
	s_and_b64 s[28:29], s[8:9], vcc
	v_lshl_add_u64 v[28:29], v[0:1], 4, v[22:23]
	s_mov_b32 s20, 0
	s_branch .LBB62_7
.LBB62_6:                               ;   in Loop: Header=BB62_7 Depth=2
	s_or_b64 exec, exec, s[0:1]
	s_add_i32 s20, s20, 32
	s_cmp_ge_i32 s20, s21
	s_waitcnt lgkmcnt(0)
	s_barrier
	s_cbranch_scc1 .LBB62_3
.LBB62_7:                               ;   Parent Loop BB62_4 Depth=1
                                        ; =>  This Inner Loop Header: Depth=2
	v_add_u32_e32 v6, s20, v37
	v_cndmask_b32_e64 v0, v6, v16, s[6:7]
	v_cndmask_b32_e64 v1, v16, v6, s[6:7]
	v_cmp_gt_i32_e64 s[10:11], v0, v1
	v_cmp_le_i32_e64 s[0:1], v0, v1
	v_mov_b64_e32 v[2:3], 0
	v_cndmask_b32_e64 v0, v16, v6, s[10:11]
	v_cndmask_b32_e64 v1, v6, v16, s[10:11]
	v_max_i32_e32 v0, v0, v1
	v_cmp_gt_i32_e64 s[10:11], s21, v0
	v_mov_b64_e32 v[0:1], 0
	v_mov_b64_e32 v[4:5], 0
	s_and_saveexec_b64 s[30:31], s[10:11]
	s_cbranch_execz .LBB62_17
; %bb.8:                                ;   in Loop: Header=BB62_7 Depth=2
                                        ; implicit-def: $vgpr4_vgpr5
	s_and_saveexec_b64 s[10:11], s[0:1]
	s_xor_b64 s[10:11], exec, s[10:11]
	s_cbranch_execz .LBB62_14
; %bb.9:                                ;   in Loop: Header=BB62_7 Depth=2
	v_cmp_ne_u32_e64 s[0:1], v6, v16
                                        ; implicit-def: $vgpr4_vgpr5
	s_and_saveexec_b64 s[34:35], s[0:1]
	s_xor_b64 s[0:1], exec, s[34:35]
	s_cbranch_execz .LBB62_11
; %bb.10:                               ;   in Loop: Header=BB62_7 Depth=2
	v_ashrrev_i32_e32 v2, 31, v6
	v_mul_lo_u32 v4, s17, v6
	v_mul_lo_u32 v5, s16, v2
	v_mad_u64_u32 v[2:3], s[34:35], s16, v6, 0
	v_add3_u32 v3, v3, v5, v4
	v_lshl_add_u64 v[2:3], v[2:3], 4, v[18:19]
	flat_load_dwordx4 v[2:5], v[2:3]
.LBB62_11:                              ;   in Loop: Header=BB62_7 Depth=2
	s_andn2_saveexec_b64 s[0:1], s[0:1]
	s_cbranch_execz .LBB62_13
; %bb.12:                               ;   in Loop: Header=BB62_7 Depth=2
	s_waitcnt vmcnt(0) lgkmcnt(0)
	flat_load_dwordx2 v[2:3], v[24:25]
	v_mov_b64_e32 v[4:5], 0
.LBB62_13:                              ;   in Loop: Header=BB62_7 Depth=2
	s_or_b64 exec, exec, s[0:1]
                                        ; implicit-def: $vgpr6
.LBB62_14:                              ;   in Loop: Header=BB62_7 Depth=2
	s_andn2_saveexec_b64 s[0:1], s[10:11]
	s_cbranch_execz .LBB62_16
; %bb.15:                               ;   in Loop: Header=BB62_7 Depth=2
	v_ashrrev_i32_e32 v7, 31, v6
	s_waitcnt vmcnt(0) lgkmcnt(0)
	v_lshl_add_u64 v[2:3], v[6:7], 4, v[20:21]
	flat_load_dwordx4 v[2:5], v[2:3]
	s_waitcnt vmcnt(0) lgkmcnt(0)
	v_xor_b32_e32 v5, 0x80000000, v5
.LBB62_16:                              ;   in Loop: Header=BB62_7 Depth=2
	s_or_b64 exec, exec, s[0:1]
.LBB62_17:                              ;   in Loop: Header=BB62_7 Depth=2
	s_or_b64 exec, exec, s[30:31]
	s_waitcnt vmcnt(0) lgkmcnt(0)
	ds_write_b128 v38, v[2:5]
	v_add_u32_e32 v4, s20, v36
	v_cmp_gt_i32_e64 s[0:1], s21, v4
	s_and_b64 s[10:11], s[0:1], vcc
	v_mov_b64_e32 v[2:3], 0
	s_and_saveexec_b64 s[0:1], s[10:11]
	s_cbranch_execz .LBB62_19
; %bb.18:                               ;   in Loop: Header=BB62_7 Depth=2
	v_ashrrev_i32_e32 v5, 31, v4
	v_lshl_add_u64 v[0:1], v[4:5], 4, v[26:27]
	flat_load_dwordx4 v[0:3], v[0:1]
.LBB62_19:                              ;   in Loop: Header=BB62_7 Depth=2
	s_or_b64 exec, exec, s[0:1]
	s_waitcnt vmcnt(0) lgkmcnt(0)
	ds_write_b128 v40, v[0:3]
	s_waitcnt lgkmcnt(0)
	s_barrier
	s_and_saveexec_b64 s[0:1], s[28:29]
	s_cbranch_execz .LBB62_6
; %bb.20:                               ;   in Loop: Header=BB62_7 Depth=2
	ds_read_b128 v[0:3], v39
	ds_read_b128 v[4:7], v17
	ds_read_b128 v[8:11], v17 offset:16
	ds_read_b128 v[12:15], v17 offset:32
	ds_read_b128 v[30:33], v17 offset:48
	ds_read_b128 v[42:45], v39 offset:512
	s_waitcnt lgkmcnt(4)
	v_mul_f64 v[34:35], v[2:3], v[6:7]
	v_fma_f64 v[34:35], v[0:1], v[4:5], -v[34:35]
	v_mul_f64 v[0:1], v[0:1], v[6:7]
	v_fmac_f64_e32 v[0:1], v[2:3], v[4:5]
	v_add_f64 v[6:7], v[0:1], 0
	s_waitcnt lgkmcnt(0)
	v_mul_f64 v[0:1], v[44:45], v[10:11]
	v_add_f64 v[4:5], v[34:35], 0
	v_fma_f64 v[34:35], v[42:43], v[8:9], -v[0:1]
	ds_read_b128 v[0:3], v39 offset:1024
	v_mul_f64 v[10:11], v[42:43], v[10:11]
	v_fmac_f64_e32 v[10:11], v[44:45], v[8:9]
	v_add_f64 v[8:9], v[4:5], v[34:35]
	v_add_f64 v[10:11], v[6:7], v[10:11]
	ds_read_b128 v[4:7], v39 offset:1536
	s_waitcnt lgkmcnt(1)
	v_mul_f64 v[34:35], v[2:3], v[14:15]
	v_fma_f64 v[34:35], v[0:1], v[12:13], -v[34:35]
	v_mul_f64 v[0:1], v[0:1], v[14:15]
	v_fmac_f64_e32 v[0:1], v[2:3], v[12:13]
	v_add_f64 v[10:11], v[10:11], v[0:1]
	s_waitcnt lgkmcnt(0)
	v_mul_f64 v[0:1], v[6:7], v[32:33]
	v_mul_f64 v[14:15], v[4:5], v[32:33]
	v_fma_f64 v[12:13], v[4:5], v[30:31], -v[0:1]
	v_fmac_f64_e32 v[14:15], v[6:7], v[30:31]
	ds_read_b128 v[0:3], v39 offset:2048
	ds_read_b128 v[4:7], v17 offset:64
	v_add_f64 v[8:9], v[8:9], v[34:35]
	v_add_f64 v[30:31], v[8:9], v[12:13]
	;; [unrolled: 1-line block ×3, first 2 shown]
	ds_read_b128 v[8:11], v39 offset:2560
	ds_read_b128 v[12:15], v17 offset:80
	s_waitcnt lgkmcnt(2)
	v_mul_f64 v[34:35], v[2:3], v[6:7]
	v_fma_f64 v[34:35], v[0:1], v[4:5], -v[34:35]
	v_mul_f64 v[0:1], v[0:1], v[6:7]
	v_fmac_f64_e32 v[0:1], v[2:3], v[4:5]
	v_add_f64 v[32:33], v[32:33], v[0:1]
	s_waitcnt lgkmcnt(0)
	v_mul_f64 v[0:1], v[10:11], v[14:15]
	v_add_f64 v[30:31], v[30:31], v[34:35]
	v_fma_f64 v[34:35], v[8:9], v[12:13], -v[0:1]
	ds_read_b128 v[0:3], v39 offset:3072
	ds_read_b128 v[4:7], v17 offset:96
	v_mul_f64 v[8:9], v[8:9], v[14:15]
	v_fmac_f64_e32 v[8:9], v[10:11], v[12:13]
	v_add_f64 v[32:33], v[32:33], v[8:9]
	ds_read_b128 v[8:11], v39 offset:3584
	ds_read_b128 v[12:15], v17 offset:112
	v_add_f64 v[30:31], v[30:31], v[34:35]
	s_waitcnt lgkmcnt(2)
	v_mul_f64 v[34:35], v[2:3], v[6:7]
	v_fma_f64 v[34:35], v[0:1], v[4:5], -v[34:35]
	v_mul_f64 v[0:1], v[0:1], v[6:7]
	v_fmac_f64_e32 v[0:1], v[2:3], v[4:5]
	v_add_f64 v[32:33], v[32:33], v[0:1]
	s_waitcnt lgkmcnt(0)
	v_mul_f64 v[0:1], v[10:11], v[14:15]
	v_add_f64 v[30:31], v[30:31], v[34:35]
	v_fma_f64 v[34:35], v[8:9], v[12:13], -v[0:1]
	ds_read_b128 v[0:3], v39 offset:4096
	ds_read_b128 v[4:7], v17 offset:128
	v_mul_f64 v[8:9], v[8:9], v[14:15]
	v_fmac_f64_e32 v[8:9], v[10:11], v[12:13]
	v_add_f64 v[32:33], v[32:33], v[8:9]
	ds_read_b128 v[8:11], v39 offset:4608
	ds_read_b128 v[12:15], v17 offset:144
	v_add_f64 v[30:31], v[30:31], v[34:35]
	;; [unrolled: 18-line block ×8, first 2 shown]
	s_waitcnt lgkmcnt(2)
	v_mul_f64 v[34:35], v[2:3], v[6:7]
	v_fma_f64 v[34:35], v[0:1], v[4:5], -v[34:35]
	v_mul_f64 v[0:1], v[0:1], v[6:7]
	v_fmac_f64_e32 v[0:1], v[2:3], v[4:5]
	v_add_f64 v[32:33], v[32:33], v[0:1]
	s_waitcnt lgkmcnt(0)
	v_mul_f64 v[0:1], v[10:11], v[14:15]
	v_add_f64 v[30:31], v[30:31], v[34:35]
	v_fma_f64 v[34:35], v[8:9], v[12:13], -v[0:1]
	v_mul_f64 v[8:9], v[8:9], v[14:15]
	v_fmac_f64_e32 v[8:9], v[10:11], v[12:13]
	ds_read_b128 v[0:3], v39 offset:11264
	ds_read_b128 v[4:7], v17 offset:352
	v_add_f64 v[32:33], v[32:33], v[8:9]
	ds_read_b128 v[8:11], v39 offset:11776
	ds_read_b128 v[12:15], v17 offset:368
	flat_load_dwordx4 v[42:45], v[28:29]
	v_add_f64 v[30:31], v[30:31], v[34:35]
	s_waitcnt lgkmcnt(0)
	v_mul_f64 v[34:35], v[2:3], v[6:7]
	v_fma_f64 v[34:35], v[0:1], v[4:5], -v[34:35]
	v_mul_f64 v[0:1], v[0:1], v[6:7]
	v_fmac_f64_e32 v[0:1], v[2:3], v[4:5]
	v_add_f64 v[32:33], v[32:33], v[0:1]
	v_mul_f64 v[0:1], v[10:11], v[14:15]
	v_add_f64 v[30:31], v[30:31], v[34:35]
	v_fma_f64 v[34:35], v[8:9], v[12:13], -v[0:1]
	ds_read_b128 v[0:3], v39 offset:12288
	ds_read_b128 v[4:7], v17 offset:384
	v_mul_f64 v[8:9], v[8:9], v[14:15]
	v_fmac_f64_e32 v[8:9], v[10:11], v[12:13]
	v_add_f64 v[32:33], v[32:33], v[8:9]
	ds_read_b128 v[8:11], v39 offset:12800
	ds_read_b128 v[12:15], v17 offset:400
	v_add_f64 v[30:31], v[30:31], v[34:35]
	s_waitcnt lgkmcnt(0)
	v_mul_f64 v[34:35], v[2:3], v[6:7]
	v_fma_f64 v[34:35], v[0:1], v[4:5], -v[34:35]
	v_mul_f64 v[0:1], v[0:1], v[6:7]
	v_fmac_f64_e32 v[0:1], v[2:3], v[4:5]
	v_add_f64 v[32:33], v[32:33], v[0:1]
	v_mul_f64 v[0:1], v[10:11], v[14:15]
	v_add_f64 v[30:31], v[30:31], v[34:35]
	v_fma_f64 v[34:35], v[8:9], v[12:13], -v[0:1]
	ds_read_b128 v[0:3], v39 offset:13312
	ds_read_b128 v[4:7], v17 offset:416
	v_mul_f64 v[8:9], v[8:9], v[14:15]
	v_fmac_f64_e32 v[8:9], v[10:11], v[12:13]
	v_add_f64 v[32:33], v[32:33], v[8:9]
	ds_read_b128 v[8:11], v39 offset:13824
	ds_read_b128 v[12:15], v17 offset:432
	;; [unrolled: 17-line block ×3, first 2 shown]
	v_add_f64 v[30:31], v[30:31], v[34:35]
	s_waitcnt lgkmcnt(0)
	v_mul_f64 v[34:35], v[2:3], v[6:7]
	v_fma_f64 v[34:35], v[0:1], v[4:5], -v[34:35]
	v_mul_f64 v[0:1], v[0:1], v[6:7]
	v_fmac_f64_e32 v[0:1], v[2:3], v[4:5]
	v_add_f64 v[32:33], v[32:33], v[0:1]
	v_mul_f64 v[0:1], v[10:11], v[14:15]
	v_add_f64 v[30:31], v[30:31], v[34:35]
	v_fma_f64 v[34:35], v[8:9], v[12:13], -v[0:1]
	v_mul_f64 v[8:9], v[8:9], v[14:15]
	ds_read_b128 v[0:3], v39 offset:15360
	ds_read_b128 v[4:7], v17 offset:480
	v_fmac_f64_e32 v[8:9], v[10:11], v[12:13]
	v_add_f64 v[32:33], v[32:33], v[8:9]
	ds_read_b128 v[8:11], v39 offset:15872
	ds_read_b128 v[12:15], v17 offset:496
	v_add_f64 v[30:31], v[30:31], v[34:35]
	s_waitcnt lgkmcnt(0)
	v_mul_f64 v[34:35], v[2:3], v[6:7]
	v_fma_f64 v[34:35], v[0:1], v[4:5], -v[34:35]
	v_mul_f64 v[0:1], v[0:1], v[6:7]
	v_fmac_f64_e32 v[0:1], v[2:3], v[4:5]
	v_mul_f64 v[6:7], v[8:9], v[14:15]
	v_add_f64 v[0:1], v[32:33], v[0:1]
	v_mul_f64 v[4:5], v[10:11], v[14:15]
	v_fmac_f64_e32 v[6:7], v[10:11], v[12:13]
	v_add_f64 v[2:3], v[30:31], v[34:35]
	v_fma_f64 v[4:5], v[8:9], v[12:13], -v[4:5]
	v_add_f64 v[0:1], v[0:1], v[6:7]
	v_add_f64 v[2:3], v[2:3], v[4:5]
	v_mul_f64 v[4:5], s[14:15], v[0:1]
	v_fma_f64 v[4:5], s[12:13], v[2:3], -v[4:5]
	v_mul_f64 v[2:3], s[14:15], v[2:3]
	v_fmac_f64_e32 v[2:3], s[12:13], v[0:1]
	s_waitcnt vmcnt(0)
	v_add_f64 v[0:1], v[42:43], v[4:5]
	v_add_f64 v[2:3], v[44:45], v[2:3]
	flat_store_dwordx4 v[28:29], v[0:3]
	s_branch .LBB62_6
.LBB62_21:
	s_endpgm
	.section	.rodata,"a",@progbits
	.p2align	6, 0x0
	.amdhsa_kernel _ZL24rocblas_symm_hemm_kernelILb1ELb0ELi32E19rocblas_complex_numIdEPKPKS1_PKPS1_EvbiiT2_T3_lllSA_lllT4_llli
		.amdhsa_group_segment_fixed_size 32768
		.amdhsa_private_segment_fixed_size 0
		.amdhsa_kernarg_size 392
		.amdhsa_user_sgpr_count 2
		.amdhsa_user_sgpr_dispatch_ptr 0
		.amdhsa_user_sgpr_queue_ptr 0
		.amdhsa_user_sgpr_kernarg_segment_ptr 1
		.amdhsa_user_sgpr_dispatch_id 0
		.amdhsa_user_sgpr_kernarg_preload_length 0
		.amdhsa_user_sgpr_kernarg_preload_offset 0
		.amdhsa_user_sgpr_private_segment_size 0
		.amdhsa_uses_dynamic_stack 0
		.amdhsa_enable_private_segment 0
		.amdhsa_system_sgpr_workgroup_id_x 1
		.amdhsa_system_sgpr_workgroup_id_y 1
		.amdhsa_system_sgpr_workgroup_id_z 1
		.amdhsa_system_sgpr_workgroup_info 0
		.amdhsa_system_vgpr_workitem_id 1
		.amdhsa_next_free_vgpr 46
		.amdhsa_next_free_sgpr 36
		.amdhsa_accum_offset 48
		.amdhsa_reserve_vcc 1
		.amdhsa_float_round_mode_32 0
		.amdhsa_float_round_mode_16_64 0
		.amdhsa_float_denorm_mode_32 3
		.amdhsa_float_denorm_mode_16_64 3
		.amdhsa_dx10_clamp 1
		.amdhsa_ieee_mode 1
		.amdhsa_fp16_overflow 0
		.amdhsa_tg_split 0
		.amdhsa_exception_fp_ieee_invalid_op 0
		.amdhsa_exception_fp_denorm_src 0
		.amdhsa_exception_fp_ieee_div_zero 0
		.amdhsa_exception_fp_ieee_overflow 0
		.amdhsa_exception_fp_ieee_underflow 0
		.amdhsa_exception_fp_ieee_inexact 0
		.amdhsa_exception_int_div_zero 0
	.end_amdhsa_kernel
	.section	.text._ZL24rocblas_symm_hemm_kernelILb1ELb0ELi32E19rocblas_complex_numIdEPKPKS1_PKPS1_EvbiiT2_T3_lllSA_lllT4_llli,"axG",@progbits,_ZL24rocblas_symm_hemm_kernelILb1ELb0ELi32E19rocblas_complex_numIdEPKPKS1_PKPS1_EvbiiT2_T3_lllSA_lllT4_llli,comdat
.Lfunc_end62:
	.size	_ZL24rocblas_symm_hemm_kernelILb1ELb0ELi32E19rocblas_complex_numIdEPKPKS1_PKPS1_EvbiiT2_T3_lllSA_lllT4_llli, .Lfunc_end62-_ZL24rocblas_symm_hemm_kernelILb1ELb0ELi32E19rocblas_complex_numIdEPKPKS1_PKPS1_EvbiiT2_T3_lllSA_lllT4_llli
                                        ; -- End function
	.set _ZL24rocblas_symm_hemm_kernelILb1ELb0ELi32E19rocblas_complex_numIdEPKPKS1_PKPS1_EvbiiT2_T3_lllSA_lllT4_llli.num_vgpr, 46
	.set _ZL24rocblas_symm_hemm_kernelILb1ELb0ELi32E19rocblas_complex_numIdEPKPKS1_PKPS1_EvbiiT2_T3_lllSA_lllT4_llli.num_agpr, 0
	.set _ZL24rocblas_symm_hemm_kernelILb1ELb0ELi32E19rocblas_complex_numIdEPKPKS1_PKPS1_EvbiiT2_T3_lllSA_lllT4_llli.numbered_sgpr, 36
	.set _ZL24rocblas_symm_hemm_kernelILb1ELb0ELi32E19rocblas_complex_numIdEPKPKS1_PKPS1_EvbiiT2_T3_lllSA_lllT4_llli.num_named_barrier, 0
	.set _ZL24rocblas_symm_hemm_kernelILb1ELb0ELi32E19rocblas_complex_numIdEPKPKS1_PKPS1_EvbiiT2_T3_lllSA_lllT4_llli.private_seg_size, 0
	.set _ZL24rocblas_symm_hemm_kernelILb1ELb0ELi32E19rocblas_complex_numIdEPKPKS1_PKPS1_EvbiiT2_T3_lllSA_lllT4_llli.uses_vcc, 1
	.set _ZL24rocblas_symm_hemm_kernelILb1ELb0ELi32E19rocblas_complex_numIdEPKPKS1_PKPS1_EvbiiT2_T3_lllSA_lllT4_llli.uses_flat_scratch, 0
	.set _ZL24rocblas_symm_hemm_kernelILb1ELb0ELi32E19rocblas_complex_numIdEPKPKS1_PKPS1_EvbiiT2_T3_lllSA_lllT4_llli.has_dyn_sized_stack, 0
	.set _ZL24rocblas_symm_hemm_kernelILb1ELb0ELi32E19rocblas_complex_numIdEPKPKS1_PKPS1_EvbiiT2_T3_lllSA_lllT4_llli.has_recursion, 0
	.set _ZL24rocblas_symm_hemm_kernelILb1ELb0ELi32E19rocblas_complex_numIdEPKPKS1_PKPS1_EvbiiT2_T3_lllSA_lllT4_llli.has_indirect_call, 0
	.section	.AMDGPU.csdata,"",@progbits
; Kernel info:
; codeLenInByte = 3008
; TotalNumSgprs: 42
; NumVgprs: 46
; NumAgprs: 0
; TotalNumVgprs: 46
; ScratchSize: 0
; MemoryBound: 1
; FloatMode: 240
; IeeeMode: 1
; LDSByteSize: 32768 bytes/workgroup (compile time only)
; SGPRBlocks: 5
; VGPRBlocks: 5
; NumSGPRsForWavesPerEU: 42
; NumVGPRsForWavesPerEU: 46
; AccumOffset: 48
; Occupancy: 8
; WaveLimiterHint : 1
; COMPUTE_PGM_RSRC2:SCRATCH_EN: 0
; COMPUTE_PGM_RSRC2:USER_SGPR: 2
; COMPUTE_PGM_RSRC2:TRAP_HANDLER: 0
; COMPUTE_PGM_RSRC2:TGID_X_EN: 1
; COMPUTE_PGM_RSRC2:TGID_Y_EN: 1
; COMPUTE_PGM_RSRC2:TGID_Z_EN: 1
; COMPUTE_PGM_RSRC2:TIDIG_COMP_CNT: 1
; COMPUTE_PGM_RSRC3_GFX90A:ACCUM_OFFSET: 11
; COMPUTE_PGM_RSRC3_GFX90A:TG_SPLIT: 0
	.section	.text._ZL24rocblas_symm_hemm_kernelILb1ELb1ELi32E19rocblas_complex_numIdEPKPKS1_PKPS1_EvbiiT2_T3_lllSA_lllT4_llli,"axG",@progbits,_ZL24rocblas_symm_hemm_kernelILb1ELb1ELi32E19rocblas_complex_numIdEPKPKS1_PKPS1_EvbiiT2_T3_lllSA_lllT4_llli,comdat
	.globl	_ZL24rocblas_symm_hemm_kernelILb1ELb1ELi32E19rocblas_complex_numIdEPKPKS1_PKPS1_EvbiiT2_T3_lllSA_lllT4_llli ; -- Begin function _ZL24rocblas_symm_hemm_kernelILb1ELb1ELi32E19rocblas_complex_numIdEPKPKS1_PKPS1_EvbiiT2_T3_lllSA_lllT4_llli
	.p2align	8
	.type	_ZL24rocblas_symm_hemm_kernelILb1ELb1ELi32E19rocblas_complex_numIdEPKPKS1_PKPS1_EvbiiT2_T3_lllSA_lllT4_llli,@function
_ZL24rocblas_symm_hemm_kernelILb1ELb1ELi32E19rocblas_complex_numIdEPKPKS1_PKPS1_EvbiiT2_T3_lllSA_lllT4_llli: ; @_ZL24rocblas_symm_hemm_kernelILb1ELb1ELi32E19rocblas_complex_numIdEPKPKS1_PKPS1_EvbiiT2_T3_lllSA_lllT4_llli
; %bb.0:
	s_load_dwordx8 s[12:19], s[0:1], 0x10
	s_waitcnt lgkmcnt(0)
	v_cmp_eq_f64_e64 s[6:7], s[12:13], 0
	v_cmp_eq_f64_e64 s[8:9], s[14:15], 0
	s_and_b64 s[6:7], s[6:7], s[8:9]
	s_and_b64 vcc, exec, s[6:7]
	s_cbranch_vccnz .LBB63_21
; %bb.1:
	s_load_dwordx4 s[8:11], s[0:1], 0x0
	s_waitcnt lgkmcnt(0)
	s_add_i32 s5, s10, -1
	s_ashr_i32 s6, s5, 31
	s_lshr_b32 s6, s6, 27
	s_add_i32 s5, s5, s6
	s_ashr_i32 s11, s5, 5
	s_cmp_gt_i32 s3, s11
	s_cbranch_scc1 .LBB63_21
; %bb.2:
	s_mov_b32 s5, 0
	s_lshl_b64 s[4:5], s[4:5], 3
	s_add_u32 s6, s16, s4
	s_addc_u32 s7, s17, s5
	s_load_dwordx2 s[22:23], s[6:7], 0x0
	s_load_dwordx2 s[16:17], s[0:1], 0x30
	s_load_dwordx4 s[24:27], s[0:1], 0x40
	s_load_dwordx2 s[20:21], s[0:1], 0x50
	s_load_dwordx4 s[28:31], s[0:1], 0x60
	s_lshl_b64 s[6:7], s[18:19], 4
	s_waitcnt lgkmcnt(0)
	s_add_u32 s18, s22, s6
	s_addc_u32 s19, s23, s7
	s_add_u32 s6, s24, s4
	s_addc_u32 s7, s25, s5
	;; [unrolled: 2-line block ×3, first 2 shown]
	s_load_dwordx2 s[22:23], s[4:5], 0x0
	s_load_dwordx2 s[24:25], s[6:7], 0x0
	s_bitcmp1_b32 s8, 0
	s_cselect_b64 s[6:7], -1, 0
	s_lshl_b64 s[4:5], s[30:31], 4
	s_waitcnt lgkmcnt(0)
	s_add_u32 s4, s22, s4
	v_and_b32_e32 v36, 0x3ff, v0
	s_addc_u32 s5, s23, s5
	s_lshl_b64 s[22:23], s[26:27], 4
	v_lshl_add_u32 v2, s2, 5, v36
	s_add_u32 s22, s24, s22
	v_ashrrev_i32_e32 v3, 31, v2
	s_addc_u32 s23, s25, s23
	v_bfe_u32 v37, v0, 10, 10
	v_lshlrev_b64 v[0:1], 4, v[2:3]
	v_lshl_add_u64 v[16:17], s[22:23], 0, v[0:1]
	s_load_dwordx2 s[22:23], s[0:1], 0x70
	s_load_dword s2, s[0:1], 0x8c
	s_cmp_gt_i32 s10, 0
	s_cselect_b64 s[24:25], -1, 0
	v_cmp_gt_i32_e64 s[8:9], s9, v2
	v_lshlrev_b32_e32 v2, 4, v37
	v_lshl_add_u64 v[18:19], s[4:5], 0, v[0:1]
	v_lshl_add_u32 v0, s3, 5, v37
	v_lshlrev_b32_e32 v38, 9, v36
	v_or_b32_e32 v40, 0x4000, v2
	v_sub_u32_e32 v42, 0, v0
	v_cndmask_b32_e64 v0, 0, 1, s[24:25]
	v_add_u32_e32 v39, v38, v2
	v_add_u32_e32 v41, v40, v38
	s_waitcnt lgkmcnt(0)
	s_lshl_b32 s30, s2, 5
	v_cmp_ne_u32_e64 s[4:5], 1, v0
	s_branch .LBB63_4
.LBB63_3:                               ;   in Loop: Header=BB63_4 Depth=1
	s_add_i32 s3, s3, s2
	s_cmp_gt_i32 s3, s11
	v_subrev_u32_e32 v42, s30, v42
	s_cbranch_scc1 .LBB63_21
.LBB63_4:                               ; =>This Loop Header: Depth=1
                                        ;     Child Loop BB63_7 Depth 2
	s_and_b64 vcc, exec, s[4:5]
	s_cbranch_vccnz .LBB63_3
; %bb.5:                                ;   in Loop: Header=BB63_4 Depth=1
	v_lshl_add_u32 v20, s3, 5, v37
	v_ashrrev_i32_e32 v21, 31, v20
	v_mul_lo_u32 v2, s16, v21
	v_mul_lo_u32 v3, s17, v20
	v_mad_u64_u32 v[0:1], s[0:1], s16, v20, 0
	v_add3_u32 v1, v1, v2, v3
	v_mul_lo_u32 v4, s22, v21
	v_mul_lo_u32 v5, s23, v20
	v_mad_u64_u32 v[2:3], s[0:1], s22, v20, 0
	v_lshl_add_u64 v[22:23], v[0:1], 4, s[18:19]
	v_lshlrev_b64 v[0:1], 4, v[20:21]
	v_cmp_gt_i32_e32 vcc, s10, v20
	v_add3_u32 v3, v3, v4, v5
	v_lshl_add_u64 v[24:25], s[18:19], 0, v[0:1]
	s_and_b64 s[24:25], s[8:9], vcc
	v_lshl_add_u64 v[26:27], v[2:3], 4, v[18:19]
	v_lshl_add_u64 v[28:29], v[22:23], 0, v[0:1]
	v_add_u32_e32 v21, v36, v42
	s_mov_b32 s31, 0
	s_branch .LBB63_7
.LBB63_6:                               ;   in Loop: Header=BB63_7 Depth=2
	s_or_b64 exec, exec, s[0:1]
	s_add_i32 s31, s31, 32
	s_cmp_ge_i32 s31, s10
	s_waitcnt lgkmcnt(0)
	s_barrier
	s_cbranch_scc1 .LBB63_3
.LBB63_7:                               ;   Parent Loop BB63_4 Depth=1
                                        ; =>  This Inner Loop Header: Depth=2
	v_add_u32_e32 v6, s31, v37
	v_cmp_gt_i32_e32 vcc, s10, v6
	s_and_b64 s[26:27], s[8:9], vcc
	v_mov_b64_e32 v[0:1], 0
	v_mov_b64_e32 v[2:3], 0
	;; [unrolled: 1-line block ×3, first 2 shown]
	s_and_saveexec_b64 s[0:1], s[26:27]
	s_cbranch_execz .LBB63_9
; %bb.8:                                ;   in Loop: Header=BB63_7 Depth=2
	v_ashrrev_i32_e32 v2, 31, v6
	v_mul_lo_u32 v4, s21, v6
	v_mul_lo_u32 v5, s20, v2
	v_mad_u64_u32 v[2:3], s[26:27], s20, v6, 0
	v_add3_u32 v3, v3, v5, v4
	v_lshl_add_u64 v[2:3], v[2:3], 4, v[16:17]
	flat_load_dwordx4 v[2:5], v[2:3]
.LBB63_9:                               ;   in Loop: Header=BB63_7 Depth=2
	s_or_b64 exec, exec, s[0:1]
	s_waitcnt vmcnt(0) lgkmcnt(0)
	ds_write_b128 v39, v[2:5]
	v_add_u32_e32 v4, s31, v36
	v_cndmask_b32_e64 v2, v20, v4, s[6:7]
	v_cndmask_b32_e64 v3, v4, v20, s[6:7]
	v_cmp_gt_i32_e64 s[0:1], v2, v3
	v_cmp_le_i32_e32 vcc, v2, v3
	s_nop 0
	v_cndmask_b32_e64 v2, v4, v20, s[0:1]
	v_cndmask_b32_e64 v3, v20, v4, s[0:1]
	v_max_i32_e32 v2, v2, v3
	v_cmp_gt_i32_e64 s[0:1], s10, v2
	v_mov_b64_e32 v[2:3], 0
	s_and_saveexec_b64 s[26:27], s[0:1]
	s_cbranch_execz .LBB63_19
; %bb.10:                               ;   in Loop: Header=BB63_7 Depth=2
                                        ; implicit-def: $vgpr2_vgpr3
	s_and_saveexec_b64 s[0:1], vcc
	s_xor_b64 s[0:1], exec, s[0:1]
	s_cbranch_execz .LBB63_16
; %bb.11:                               ;   in Loop: Header=BB63_7 Depth=2
	v_add_u32_e32 v0, s31, v21
	v_cmp_ne_u32_e32 vcc, 0, v0
                                        ; implicit-def: $vgpr2_vgpr3
	s_and_saveexec_b64 s[28:29], vcc
	s_xor_b64 s[28:29], exec, s[28:29]
	s_cbranch_execz .LBB63_13
; %bb.12:                               ;   in Loop: Header=BB63_7 Depth=2
	v_ashrrev_i32_e32 v5, 31, v4
	v_lshl_add_u64 v[0:1], v[4:5], 4, v[22:23]
	flat_load_dwordx4 v[0:3], v[0:1]
.LBB63_13:                              ;   in Loop: Header=BB63_7 Depth=2
	s_andn2_saveexec_b64 s[28:29], s[28:29]
	s_cbranch_execz .LBB63_15
; %bb.14:                               ;   in Loop: Header=BB63_7 Depth=2
	s_waitcnt vmcnt(0) lgkmcnt(0)
	flat_load_dwordx2 v[0:1], v[28:29]
	v_mov_b64_e32 v[2:3], 0
.LBB63_15:                              ;   in Loop: Header=BB63_7 Depth=2
	s_or_b64 exec, exec, s[28:29]
                                        ; implicit-def: $vgpr4
.LBB63_16:                              ;   in Loop: Header=BB63_7 Depth=2
	s_andn2_saveexec_b64 s[0:1], s[0:1]
	s_cbranch_execz .LBB63_18
; %bb.17:                               ;   in Loop: Header=BB63_7 Depth=2
	s_waitcnt vmcnt(0) lgkmcnt(0)
	v_ashrrev_i32_e32 v0, 31, v4
	v_mul_lo_u32 v2, s17, v4
	v_mul_lo_u32 v3, s16, v0
	v_mad_u64_u32 v[0:1], s[28:29], s16, v4, 0
	v_add3_u32 v1, v1, v3, v2
	v_lshl_add_u64 v[0:1], v[0:1], 4, v[24:25]
	flat_load_dwordx4 v[0:3], v[0:1]
	s_waitcnt vmcnt(0) lgkmcnt(0)
	v_xor_b32_e32 v3, 0x80000000, v3
.LBB63_18:                              ;   in Loop: Header=BB63_7 Depth=2
	s_or_b64 exec, exec, s[0:1]
.LBB63_19:                              ;   in Loop: Header=BB63_7 Depth=2
	s_or_b64 exec, exec, s[26:27]
	s_waitcnt vmcnt(0) lgkmcnt(0)
	ds_write_b128 v41, v[0:3]
	s_waitcnt lgkmcnt(0)
	s_barrier
	s_and_saveexec_b64 s[0:1], s[24:25]
	s_cbranch_execz .LBB63_6
; %bb.20:                               ;   in Loop: Header=BB63_7 Depth=2
	ds_read_b128 v[0:3], v40
	ds_read_b128 v[4:7], v38
	ds_read_b128 v[8:11], v38 offset:16
	ds_read_b128 v[12:15], v38 offset:32
	;; [unrolled: 1-line block ×4, first 2 shown]
	s_waitcnt lgkmcnt(4)
	v_mul_f64 v[34:35], v[2:3], v[6:7]
	v_fma_f64 v[34:35], v[0:1], v[4:5], -v[34:35]
	v_mul_f64 v[0:1], v[0:1], v[6:7]
	v_fmac_f64_e32 v[0:1], v[2:3], v[4:5]
	v_add_f64 v[6:7], v[0:1], 0
	s_waitcnt lgkmcnt(0)
	v_mul_f64 v[0:1], v[46:47], v[10:11]
	v_add_f64 v[4:5], v[34:35], 0
	v_fma_f64 v[34:35], v[44:45], v[8:9], -v[0:1]
	ds_read_b128 v[0:3], v40 offset:1024
	v_mul_f64 v[10:11], v[44:45], v[10:11]
	v_fmac_f64_e32 v[10:11], v[46:47], v[8:9]
	v_add_f64 v[8:9], v[4:5], v[34:35]
	v_add_f64 v[10:11], v[6:7], v[10:11]
	ds_read_b128 v[4:7], v40 offset:1536
	s_waitcnt lgkmcnt(1)
	v_mul_f64 v[34:35], v[2:3], v[14:15]
	v_fma_f64 v[34:35], v[0:1], v[12:13], -v[34:35]
	v_mul_f64 v[0:1], v[0:1], v[14:15]
	v_fmac_f64_e32 v[0:1], v[2:3], v[12:13]
	v_add_f64 v[10:11], v[10:11], v[0:1]
	s_waitcnt lgkmcnt(0)
	v_mul_f64 v[0:1], v[6:7], v[32:33]
	v_mul_f64 v[14:15], v[4:5], v[32:33]
	v_fma_f64 v[12:13], v[4:5], v[30:31], -v[0:1]
	v_fmac_f64_e32 v[14:15], v[6:7], v[30:31]
	ds_read_b128 v[0:3], v40 offset:2048
	ds_read_b128 v[4:7], v38 offset:64
	v_add_f64 v[8:9], v[8:9], v[34:35]
	v_add_f64 v[30:31], v[8:9], v[12:13]
	;; [unrolled: 1-line block ×3, first 2 shown]
	ds_read_b128 v[8:11], v40 offset:2560
	ds_read_b128 v[12:15], v38 offset:80
	s_waitcnt lgkmcnt(2)
	v_mul_f64 v[34:35], v[2:3], v[6:7]
	v_fma_f64 v[34:35], v[0:1], v[4:5], -v[34:35]
	v_mul_f64 v[0:1], v[0:1], v[6:7]
	v_fmac_f64_e32 v[0:1], v[2:3], v[4:5]
	v_add_f64 v[32:33], v[32:33], v[0:1]
	s_waitcnt lgkmcnt(0)
	v_mul_f64 v[0:1], v[10:11], v[14:15]
	v_add_f64 v[30:31], v[30:31], v[34:35]
	v_fma_f64 v[34:35], v[8:9], v[12:13], -v[0:1]
	ds_read_b128 v[0:3], v40 offset:3072
	ds_read_b128 v[4:7], v38 offset:96
	v_mul_f64 v[8:9], v[8:9], v[14:15]
	v_fmac_f64_e32 v[8:9], v[10:11], v[12:13]
	v_add_f64 v[32:33], v[32:33], v[8:9]
	ds_read_b128 v[8:11], v40 offset:3584
	ds_read_b128 v[12:15], v38 offset:112
	v_add_f64 v[30:31], v[30:31], v[34:35]
	s_waitcnt lgkmcnt(2)
	v_mul_f64 v[34:35], v[2:3], v[6:7]
	v_fma_f64 v[34:35], v[0:1], v[4:5], -v[34:35]
	v_mul_f64 v[0:1], v[0:1], v[6:7]
	v_fmac_f64_e32 v[0:1], v[2:3], v[4:5]
	v_add_f64 v[32:33], v[32:33], v[0:1]
	s_waitcnt lgkmcnt(0)
	v_mul_f64 v[0:1], v[10:11], v[14:15]
	v_add_f64 v[30:31], v[30:31], v[34:35]
	v_fma_f64 v[34:35], v[8:9], v[12:13], -v[0:1]
	ds_read_b128 v[0:3], v40 offset:4096
	ds_read_b128 v[4:7], v38 offset:128
	v_mul_f64 v[8:9], v[8:9], v[14:15]
	v_fmac_f64_e32 v[8:9], v[10:11], v[12:13]
	v_add_f64 v[32:33], v[32:33], v[8:9]
	ds_read_b128 v[8:11], v40 offset:4608
	ds_read_b128 v[12:15], v38 offset:144
	v_add_f64 v[30:31], v[30:31], v[34:35]
	;; [unrolled: 18-line block ×8, first 2 shown]
	s_waitcnt lgkmcnt(2)
	v_mul_f64 v[34:35], v[2:3], v[6:7]
	v_fma_f64 v[34:35], v[0:1], v[4:5], -v[34:35]
	v_mul_f64 v[0:1], v[0:1], v[6:7]
	v_fmac_f64_e32 v[0:1], v[2:3], v[4:5]
	v_add_f64 v[32:33], v[32:33], v[0:1]
	s_waitcnt lgkmcnt(0)
	v_mul_f64 v[0:1], v[10:11], v[14:15]
	v_add_f64 v[30:31], v[30:31], v[34:35]
	v_fma_f64 v[34:35], v[8:9], v[12:13], -v[0:1]
	v_mul_f64 v[8:9], v[8:9], v[14:15]
	v_fmac_f64_e32 v[8:9], v[10:11], v[12:13]
	ds_read_b128 v[0:3], v40 offset:11264
	ds_read_b128 v[4:7], v38 offset:352
	v_add_f64 v[32:33], v[32:33], v[8:9]
	ds_read_b128 v[8:11], v40 offset:11776
	ds_read_b128 v[12:15], v38 offset:368
	flat_load_dwordx4 v[44:47], v[26:27]
	v_add_f64 v[30:31], v[30:31], v[34:35]
	s_waitcnt lgkmcnt(0)
	v_mul_f64 v[34:35], v[2:3], v[6:7]
	v_fma_f64 v[34:35], v[0:1], v[4:5], -v[34:35]
	v_mul_f64 v[0:1], v[0:1], v[6:7]
	v_fmac_f64_e32 v[0:1], v[2:3], v[4:5]
	v_add_f64 v[32:33], v[32:33], v[0:1]
	v_mul_f64 v[0:1], v[10:11], v[14:15]
	v_add_f64 v[30:31], v[30:31], v[34:35]
	v_fma_f64 v[34:35], v[8:9], v[12:13], -v[0:1]
	ds_read_b128 v[0:3], v40 offset:12288
	ds_read_b128 v[4:7], v38 offset:384
	v_mul_f64 v[8:9], v[8:9], v[14:15]
	v_fmac_f64_e32 v[8:9], v[10:11], v[12:13]
	v_add_f64 v[32:33], v[32:33], v[8:9]
	ds_read_b128 v[8:11], v40 offset:12800
	ds_read_b128 v[12:15], v38 offset:400
	v_add_f64 v[30:31], v[30:31], v[34:35]
	s_waitcnt lgkmcnt(0)
	v_mul_f64 v[34:35], v[2:3], v[6:7]
	v_fma_f64 v[34:35], v[0:1], v[4:5], -v[34:35]
	v_mul_f64 v[0:1], v[0:1], v[6:7]
	v_fmac_f64_e32 v[0:1], v[2:3], v[4:5]
	v_add_f64 v[32:33], v[32:33], v[0:1]
	v_mul_f64 v[0:1], v[10:11], v[14:15]
	v_add_f64 v[30:31], v[30:31], v[34:35]
	v_fma_f64 v[34:35], v[8:9], v[12:13], -v[0:1]
	ds_read_b128 v[0:3], v40 offset:13312
	ds_read_b128 v[4:7], v38 offset:416
	v_mul_f64 v[8:9], v[8:9], v[14:15]
	v_fmac_f64_e32 v[8:9], v[10:11], v[12:13]
	v_add_f64 v[32:33], v[32:33], v[8:9]
	ds_read_b128 v[8:11], v40 offset:13824
	ds_read_b128 v[12:15], v38 offset:432
	;; [unrolled: 17-line block ×3, first 2 shown]
	v_add_f64 v[30:31], v[30:31], v[34:35]
	s_waitcnt lgkmcnt(0)
	v_mul_f64 v[34:35], v[2:3], v[6:7]
	v_fma_f64 v[34:35], v[0:1], v[4:5], -v[34:35]
	v_mul_f64 v[0:1], v[0:1], v[6:7]
	v_fmac_f64_e32 v[0:1], v[2:3], v[4:5]
	v_add_f64 v[32:33], v[32:33], v[0:1]
	v_mul_f64 v[0:1], v[10:11], v[14:15]
	v_add_f64 v[30:31], v[30:31], v[34:35]
	v_fma_f64 v[34:35], v[8:9], v[12:13], -v[0:1]
	v_mul_f64 v[8:9], v[8:9], v[14:15]
	ds_read_b128 v[0:3], v40 offset:15360
	ds_read_b128 v[4:7], v38 offset:480
	v_fmac_f64_e32 v[8:9], v[10:11], v[12:13]
	v_add_f64 v[32:33], v[32:33], v[8:9]
	ds_read_b128 v[8:11], v40 offset:15872
	ds_read_b128 v[12:15], v38 offset:496
	v_add_f64 v[30:31], v[30:31], v[34:35]
	s_waitcnt lgkmcnt(0)
	v_mul_f64 v[34:35], v[2:3], v[6:7]
	v_fma_f64 v[34:35], v[0:1], v[4:5], -v[34:35]
	v_mul_f64 v[0:1], v[0:1], v[6:7]
	v_fmac_f64_e32 v[0:1], v[2:3], v[4:5]
	v_mul_f64 v[6:7], v[8:9], v[14:15]
	v_add_f64 v[0:1], v[32:33], v[0:1]
	v_mul_f64 v[4:5], v[10:11], v[14:15]
	v_fmac_f64_e32 v[6:7], v[10:11], v[12:13]
	v_add_f64 v[2:3], v[30:31], v[34:35]
	v_fma_f64 v[4:5], v[8:9], v[12:13], -v[4:5]
	v_add_f64 v[0:1], v[0:1], v[6:7]
	v_add_f64 v[2:3], v[2:3], v[4:5]
	v_mul_f64 v[4:5], s[14:15], v[0:1]
	v_fma_f64 v[4:5], s[12:13], v[2:3], -v[4:5]
	v_mul_f64 v[2:3], s[14:15], v[2:3]
	v_fmac_f64_e32 v[2:3], s[12:13], v[0:1]
	s_waitcnt vmcnt(0)
	v_add_f64 v[0:1], v[44:45], v[4:5]
	v_add_f64 v[2:3], v[46:47], v[2:3]
	flat_store_dwordx4 v[26:27], v[0:3]
	s_branch .LBB63_6
.LBB63_21:
	s_endpgm
	.section	.rodata,"a",@progbits
	.p2align	6, 0x0
	.amdhsa_kernel _ZL24rocblas_symm_hemm_kernelILb1ELb1ELi32E19rocblas_complex_numIdEPKPKS1_PKPS1_EvbiiT2_T3_lllSA_lllT4_llli
		.amdhsa_group_segment_fixed_size 32768
		.amdhsa_private_segment_fixed_size 0
		.amdhsa_kernarg_size 392
		.amdhsa_user_sgpr_count 2
		.amdhsa_user_sgpr_dispatch_ptr 0
		.amdhsa_user_sgpr_queue_ptr 0
		.amdhsa_user_sgpr_kernarg_segment_ptr 1
		.amdhsa_user_sgpr_dispatch_id 0
		.amdhsa_user_sgpr_kernarg_preload_length 0
		.amdhsa_user_sgpr_kernarg_preload_offset 0
		.amdhsa_user_sgpr_private_segment_size 0
		.amdhsa_uses_dynamic_stack 0
		.amdhsa_enable_private_segment 0
		.amdhsa_system_sgpr_workgroup_id_x 1
		.amdhsa_system_sgpr_workgroup_id_y 1
		.amdhsa_system_sgpr_workgroup_id_z 1
		.amdhsa_system_sgpr_workgroup_info 0
		.amdhsa_system_vgpr_workitem_id 1
		.amdhsa_next_free_vgpr 48
		.amdhsa_next_free_sgpr 32
		.amdhsa_accum_offset 48
		.amdhsa_reserve_vcc 1
		.amdhsa_float_round_mode_32 0
		.amdhsa_float_round_mode_16_64 0
		.amdhsa_float_denorm_mode_32 3
		.amdhsa_float_denorm_mode_16_64 3
		.amdhsa_dx10_clamp 1
		.amdhsa_ieee_mode 1
		.amdhsa_fp16_overflow 0
		.amdhsa_tg_split 0
		.amdhsa_exception_fp_ieee_invalid_op 0
		.amdhsa_exception_fp_denorm_src 0
		.amdhsa_exception_fp_ieee_div_zero 0
		.amdhsa_exception_fp_ieee_overflow 0
		.amdhsa_exception_fp_ieee_underflow 0
		.amdhsa_exception_fp_ieee_inexact 0
		.amdhsa_exception_int_div_zero 0
	.end_amdhsa_kernel
	.section	.text._ZL24rocblas_symm_hemm_kernelILb1ELb1ELi32E19rocblas_complex_numIdEPKPKS1_PKPS1_EvbiiT2_T3_lllSA_lllT4_llli,"axG",@progbits,_ZL24rocblas_symm_hemm_kernelILb1ELb1ELi32E19rocblas_complex_numIdEPKPKS1_PKPS1_EvbiiT2_T3_lllSA_lllT4_llli,comdat
.Lfunc_end63:
	.size	_ZL24rocblas_symm_hemm_kernelILb1ELb1ELi32E19rocblas_complex_numIdEPKPKS1_PKPS1_EvbiiT2_T3_lllSA_lllT4_llli, .Lfunc_end63-_ZL24rocblas_symm_hemm_kernelILb1ELb1ELi32E19rocblas_complex_numIdEPKPKS1_PKPS1_EvbiiT2_T3_lllSA_lllT4_llli
                                        ; -- End function
	.set _ZL24rocblas_symm_hemm_kernelILb1ELb1ELi32E19rocblas_complex_numIdEPKPKS1_PKPS1_EvbiiT2_T3_lllSA_lllT4_llli.num_vgpr, 48
	.set _ZL24rocblas_symm_hemm_kernelILb1ELb1ELi32E19rocblas_complex_numIdEPKPKS1_PKPS1_EvbiiT2_T3_lllSA_lllT4_llli.num_agpr, 0
	.set _ZL24rocblas_symm_hemm_kernelILb1ELb1ELi32E19rocblas_complex_numIdEPKPKS1_PKPS1_EvbiiT2_T3_lllSA_lllT4_llli.numbered_sgpr, 32
	.set _ZL24rocblas_symm_hemm_kernelILb1ELb1ELi32E19rocblas_complex_numIdEPKPKS1_PKPS1_EvbiiT2_T3_lllSA_lllT4_llli.num_named_barrier, 0
	.set _ZL24rocblas_symm_hemm_kernelILb1ELb1ELi32E19rocblas_complex_numIdEPKPKS1_PKPS1_EvbiiT2_T3_lllSA_lllT4_llli.private_seg_size, 0
	.set _ZL24rocblas_symm_hemm_kernelILb1ELb1ELi32E19rocblas_complex_numIdEPKPKS1_PKPS1_EvbiiT2_T3_lllSA_lllT4_llli.uses_vcc, 1
	.set _ZL24rocblas_symm_hemm_kernelILb1ELb1ELi32E19rocblas_complex_numIdEPKPKS1_PKPS1_EvbiiT2_T3_lllSA_lllT4_llli.uses_flat_scratch, 0
	.set _ZL24rocblas_symm_hemm_kernelILb1ELb1ELi32E19rocblas_complex_numIdEPKPKS1_PKPS1_EvbiiT2_T3_lllSA_lllT4_llli.has_dyn_sized_stack, 0
	.set _ZL24rocblas_symm_hemm_kernelILb1ELb1ELi32E19rocblas_complex_numIdEPKPKS1_PKPS1_EvbiiT2_T3_lllSA_lllT4_llli.has_recursion, 0
	.set _ZL24rocblas_symm_hemm_kernelILb1ELb1ELi32E19rocblas_complex_numIdEPKPKS1_PKPS1_EvbiiT2_T3_lllSA_lllT4_llli.has_indirect_call, 0
	.section	.AMDGPU.csdata,"",@progbits
; Kernel info:
; codeLenInByte = 3020
; TotalNumSgprs: 38
; NumVgprs: 48
; NumAgprs: 0
; TotalNumVgprs: 48
; ScratchSize: 0
; MemoryBound: 1
; FloatMode: 240
; IeeeMode: 1
; LDSByteSize: 32768 bytes/workgroup (compile time only)
; SGPRBlocks: 4
; VGPRBlocks: 5
; NumSGPRsForWavesPerEU: 38
; NumVGPRsForWavesPerEU: 48
; AccumOffset: 48
; Occupancy: 8
; WaveLimiterHint : 1
; COMPUTE_PGM_RSRC2:SCRATCH_EN: 0
; COMPUTE_PGM_RSRC2:USER_SGPR: 2
; COMPUTE_PGM_RSRC2:TRAP_HANDLER: 0
; COMPUTE_PGM_RSRC2:TGID_X_EN: 1
; COMPUTE_PGM_RSRC2:TGID_Y_EN: 1
; COMPUTE_PGM_RSRC2:TGID_Z_EN: 1
; COMPUTE_PGM_RSRC2:TIDIG_COMP_CNT: 1
; COMPUTE_PGM_RSRC3_GFX90A:ACCUM_OFFSET: 11
; COMPUTE_PGM_RSRC3_GFX90A:TG_SPLIT: 0
	.section	.AMDGPU.gpr_maximums,"",@progbits
	.set amdgpu.max_num_vgpr, 0
	.set amdgpu.max_num_agpr, 0
	.set amdgpu.max_num_sgpr, 0
	.section	.AMDGPU.csdata,"",@progbits
	.type	__hip_cuid_3ca8e4523ca3a040,@object ; @__hip_cuid_3ca8e4523ca3a040
	.section	.bss,"aw",@nobits
	.globl	__hip_cuid_3ca8e4523ca3a040
__hip_cuid_3ca8e4523ca3a040:
	.byte	0                               ; 0x0
	.size	__hip_cuid_3ca8e4523ca3a040, 1

	.ident	"AMD clang version 22.0.0git (https://github.com/RadeonOpenCompute/llvm-project roc-7.2.4 26084 f58b06dce1f9c15707c5f808fd002e18c2accf7e)"
	.section	".note.GNU-stack","",@progbits
	.addrsig
	.addrsig_sym __hip_cuid_3ca8e4523ca3a040
	.amdgpu_metadata
---
amdhsa.kernels:
  - .agpr_count:     0
    .args:
      - .offset:         0
        .size:           4
        .value_kind:     by_value
      - .offset:         4
        .size:           4
        .value_kind:     by_value
      - .address_space:  global
        .offset:         8
        .size:           8
        .value_kind:     global_buffer
      - .address_space:  global
        .offset:         16
        .size:           8
        .value_kind:     global_buffer
      - .offset:         24
        .size:           8
        .value_kind:     by_value
      - .offset:         32
        .size:           8
        .value_kind:     by_value
      - .offset:         40
        .size:           8
        .value_kind:     by_value
      - .offset:         48
        .size:           4
        .value_kind:     by_value
      - .offset:         56
        .size:           4
        .value_kind:     hidden_block_count_x
      - .offset:         60
        .size:           4
        .value_kind:     hidden_block_count_y
      - .offset:         64
        .size:           4
        .value_kind:     hidden_block_count_z
      - .offset:         68
        .size:           2
        .value_kind:     hidden_group_size_x
      - .offset:         70
        .size:           2
        .value_kind:     hidden_group_size_y
      - .offset:         72
        .size:           2
        .value_kind:     hidden_group_size_z
      - .offset:         74
        .size:           2
        .value_kind:     hidden_remainder_x
      - .offset:         76
        .size:           2
        .value_kind:     hidden_remainder_y
      - .offset:         78
        .size:           2
        .value_kind:     hidden_remainder_z
      - .offset:         96
        .size:           8
        .value_kind:     hidden_global_offset_x
      - .offset:         104
        .size:           8
        .value_kind:     hidden_global_offset_y
      - .offset:         112
        .size:           8
        .value_kind:     hidden_global_offset_z
      - .offset:         120
        .size:           2
        .value_kind:     hidden_grid_dims
    .group_segment_fixed_size: 0
    .kernarg_segment_align: 8
    .kernarg_segment_size: 312
    .language:       OpenCL C
    .language_version:
      - 2
      - 0
    .max_flat_workgroup_size: 1024
    .name:           _ZL25rocblas_symm_scale_kernelILi128ELi8EPKfPfEviiT1_T2_llli
    .private_segment_fixed_size: 0
    .sgpr_count:     23
    .sgpr_spill_count: 0
    .symbol:         _ZL25rocblas_symm_scale_kernelILi128ELi8EPKfPfEviiT1_T2_llli.kd
    .uniform_work_group_size: 1
    .uses_dynamic_stack: false
    .vgpr_count:     8
    .vgpr_spill_count: 0
    .wavefront_size: 64
  - .agpr_count:     0
    .args:
      - .offset:         0
        .size:           1
        .value_kind:     by_value
      - .offset:         4
        .size:           4
        .value_kind:     by_value
      - .offset:         8
        .size:           4
        .value_kind:     by_value
      - .address_space:  global
        .offset:         16
        .size:           8
        .value_kind:     global_buffer
      - .address_space:  global
        .offset:         24
        .size:           8
        .value_kind:     global_buffer
      - .offset:         32
        .size:           8
        .value_kind:     by_value
      - .offset:         40
        .size:           8
        .value_kind:     by_value
      - .offset:         48
        .size:           8
        .value_kind:     by_value
      - .address_space:  global
        .offset:         56
        .size:           8
        .value_kind:     global_buffer
      - .offset:         64
        .size:           8
        .value_kind:     by_value
      - .offset:         72
        .size:           8
        .value_kind:     by_value
      - .offset:         80
        .size:           8
        .value_kind:     by_value
      - .address_space:  global
        .offset:         88
        .size:           8
        .value_kind:     global_buffer
      - .offset:         96
        .size:           8
        .value_kind:     by_value
      - .offset:         104
        .size:           8
        .value_kind:     by_value
      - .offset:         112
        .size:           8
        .value_kind:     by_value
      - .offset:         120
        .size:           4
        .value_kind:     by_value
      - .offset:         128
        .size:           4
        .value_kind:     hidden_block_count_x
      - .offset:         132
        .size:           4
        .value_kind:     hidden_block_count_y
      - .offset:         136
        .size:           4
        .value_kind:     hidden_block_count_z
      - .offset:         140
        .size:           2
        .value_kind:     hidden_group_size_x
      - .offset:         142
        .size:           2
        .value_kind:     hidden_group_size_y
      - .offset:         144
        .size:           2
        .value_kind:     hidden_group_size_z
      - .offset:         146
        .size:           2
        .value_kind:     hidden_remainder_x
      - .offset:         148
        .size:           2
        .value_kind:     hidden_remainder_y
      - .offset:         150
        .size:           2
        .value_kind:     hidden_remainder_z
      - .offset:         168
        .size:           8
        .value_kind:     hidden_global_offset_x
      - .offset:         176
        .size:           8
        .value_kind:     hidden_global_offset_y
      - .offset:         184
        .size:           8
        .value_kind:     hidden_global_offset_z
      - .offset:         192
        .size:           2
        .value_kind:     hidden_grid_dims
    .group_segment_fixed_size: 8192
    .kernarg_segment_align: 8
    .kernarg_segment_size: 384
    .language:       OpenCL C
    .language_version:
      - 2
      - 0
    .max_flat_workgroup_size: 1024
    .name:           _ZL24rocblas_symm_hemm_kernelILb0ELb0ELi32EPKfS1_PfEvbiiT2_T3_lllS4_lllT4_llli
    .private_segment_fixed_size: 0
    .sgpr_count:     46
    .sgpr_spill_count: 0
    .symbol:         _ZL24rocblas_symm_hemm_kernelILb0ELb0ELi32EPKfS1_PfEvbiiT2_T3_lllS4_lllT4_llli.kd
    .uniform_work_group_size: 1
    .uses_dynamic_stack: false
    .vgpr_count:     40
    .vgpr_spill_count: 0
    .wavefront_size: 64
  - .agpr_count:     0
    .args:
      - .offset:         0
        .size:           1
        .value_kind:     by_value
      - .offset:         4
        .size:           4
        .value_kind:     by_value
      - .offset:         8
        .size:           4
        .value_kind:     by_value
      - .address_space:  global
        .offset:         16
        .size:           8
        .value_kind:     global_buffer
      - .address_space:  global
        .offset:         24
        .size:           8
        .value_kind:     global_buffer
      - .offset:         32
        .size:           8
        .value_kind:     by_value
      - .offset:         40
        .size:           8
        .value_kind:     by_value
      - .offset:         48
        .size:           8
        .value_kind:     by_value
      - .address_space:  global
        .offset:         56
        .size:           8
        .value_kind:     global_buffer
      - .offset:         64
        .size:           8
        .value_kind:     by_value
      - .offset:         72
        .size:           8
        .value_kind:     by_value
      - .offset:         80
        .size:           8
        .value_kind:     by_value
      - .address_space:  global
        .offset:         88
        .size:           8
        .value_kind:     global_buffer
      - .offset:         96
        .size:           8
        .value_kind:     by_value
      - .offset:         104
        .size:           8
        .value_kind:     by_value
      - .offset:         112
        .size:           8
        .value_kind:     by_value
      - .offset:         120
        .size:           4
        .value_kind:     by_value
      - .offset:         128
        .size:           4
        .value_kind:     hidden_block_count_x
      - .offset:         132
        .size:           4
        .value_kind:     hidden_block_count_y
      - .offset:         136
        .size:           4
        .value_kind:     hidden_block_count_z
      - .offset:         140
        .size:           2
        .value_kind:     hidden_group_size_x
      - .offset:         142
        .size:           2
        .value_kind:     hidden_group_size_y
      - .offset:         144
        .size:           2
        .value_kind:     hidden_group_size_z
      - .offset:         146
        .size:           2
        .value_kind:     hidden_remainder_x
      - .offset:         148
        .size:           2
        .value_kind:     hidden_remainder_y
      - .offset:         150
        .size:           2
        .value_kind:     hidden_remainder_z
      - .offset:         168
        .size:           8
        .value_kind:     hidden_global_offset_x
      - .offset:         176
        .size:           8
        .value_kind:     hidden_global_offset_y
      - .offset:         184
        .size:           8
        .value_kind:     hidden_global_offset_z
      - .offset:         192
        .size:           2
        .value_kind:     hidden_grid_dims
    .group_segment_fixed_size: 8192
    .kernarg_segment_align: 8
    .kernarg_segment_size: 384
    .language:       OpenCL C
    .language_version:
      - 2
      - 0
    .max_flat_workgroup_size: 1024
    .name:           _ZL24rocblas_symm_hemm_kernelILb0ELb1ELi32EPKfS1_PfEvbiiT2_T3_lllS4_lllT4_llli
    .private_segment_fixed_size: 0
    .sgpr_count:     46
    .sgpr_spill_count: 0
    .symbol:         _ZL24rocblas_symm_hemm_kernelILb0ELb1ELi32EPKfS1_PfEvbiiT2_T3_lllS4_lllT4_llli.kd
    .uniform_work_group_size: 1
    .uses_dynamic_stack: false
    .vgpr_count:     40
    .vgpr_spill_count: 0
    .wavefront_size: 64
  - .agpr_count:     0
    .args:
      - .offset:         0
        .size:           4
        .value_kind:     by_value
      - .offset:         4
        .size:           4
        .value_kind:     by_value
      - .offset:         8
        .size:           4
        .value_kind:     by_value
      - .address_space:  global
        .offset:         16
        .size:           8
        .value_kind:     global_buffer
      - .offset:         24
        .size:           8
        .value_kind:     by_value
      - .offset:         32
        .size:           8
        .value_kind:     by_value
      - .offset:         40
        .size:           8
        .value_kind:     by_value
      - .offset:         48
        .size:           4
        .value_kind:     by_value
      - .offset:         56
        .size:           4
        .value_kind:     hidden_block_count_x
      - .offset:         60
        .size:           4
        .value_kind:     hidden_block_count_y
      - .offset:         64
        .size:           4
        .value_kind:     hidden_block_count_z
      - .offset:         68
        .size:           2
        .value_kind:     hidden_group_size_x
      - .offset:         70
        .size:           2
        .value_kind:     hidden_group_size_y
      - .offset:         72
        .size:           2
        .value_kind:     hidden_group_size_z
      - .offset:         74
        .size:           2
        .value_kind:     hidden_remainder_x
      - .offset:         76
        .size:           2
        .value_kind:     hidden_remainder_y
      - .offset:         78
        .size:           2
        .value_kind:     hidden_remainder_z
      - .offset:         96
        .size:           8
        .value_kind:     hidden_global_offset_x
      - .offset:         104
        .size:           8
        .value_kind:     hidden_global_offset_y
      - .offset:         112
        .size:           8
        .value_kind:     hidden_global_offset_z
      - .offset:         120
        .size:           2
        .value_kind:     hidden_grid_dims
    .group_segment_fixed_size: 0
    .kernarg_segment_align: 8
    .kernarg_segment_size: 312
    .language:       OpenCL C
    .language_version:
      - 2
      - 0
    .max_flat_workgroup_size: 1024
    .name:           _ZL25rocblas_symm_scale_kernelILi128ELi8EfPfEviiT1_T2_llli
    .private_segment_fixed_size: 0
    .sgpr_count:     26
    .sgpr_spill_count: 0
    .symbol:         _ZL25rocblas_symm_scale_kernelILi128ELi8EfPfEviiT1_T2_llli.kd
    .uniform_work_group_size: 1
    .uses_dynamic_stack: false
    .vgpr_count:     8
    .vgpr_spill_count: 0
    .wavefront_size: 64
  - .agpr_count:     0
    .args:
      - .offset:         0
        .size:           1
        .value_kind:     by_value
      - .offset:         4
        .size:           4
        .value_kind:     by_value
      - .offset:         8
        .size:           4
        .value_kind:     by_value
      - .offset:         12
        .size:           4
        .value_kind:     by_value
      - .address_space:  global
        .offset:         16
        .size:           8
        .value_kind:     global_buffer
      - .offset:         24
        .size:           8
        .value_kind:     by_value
      - .offset:         32
        .size:           8
        .value_kind:     by_value
      - .offset:         40
        .size:           8
        .value_kind:     by_value
      - .address_space:  global
        .offset:         48
        .size:           8
        .value_kind:     global_buffer
      - .offset:         56
        .size:           8
        .value_kind:     by_value
      - .offset:         64
        .size:           8
        .value_kind:     by_value
      - .offset:         72
        .size:           8
        .value_kind:     by_value
      - .address_space:  global
        .offset:         80
        .size:           8
        .value_kind:     global_buffer
      - .offset:         88
        .size:           8
        .value_kind:     by_value
      - .offset:         96
        .size:           8
        .value_kind:     by_value
      - .offset:         104
        .size:           8
        .value_kind:     by_value
      - .offset:         112
        .size:           4
        .value_kind:     by_value
      - .offset:         120
        .size:           4
        .value_kind:     hidden_block_count_x
      - .offset:         124
        .size:           4
        .value_kind:     hidden_block_count_y
      - .offset:         128
        .size:           4
        .value_kind:     hidden_block_count_z
      - .offset:         132
        .size:           2
        .value_kind:     hidden_group_size_x
      - .offset:         134
        .size:           2
        .value_kind:     hidden_group_size_y
      - .offset:         136
        .size:           2
        .value_kind:     hidden_group_size_z
      - .offset:         138
        .size:           2
        .value_kind:     hidden_remainder_x
      - .offset:         140
        .size:           2
        .value_kind:     hidden_remainder_y
      - .offset:         142
        .size:           2
        .value_kind:     hidden_remainder_z
      - .offset:         160
        .size:           8
        .value_kind:     hidden_global_offset_x
      - .offset:         168
        .size:           8
        .value_kind:     hidden_global_offset_y
      - .offset:         176
        .size:           8
        .value_kind:     hidden_global_offset_z
      - .offset:         184
        .size:           2
        .value_kind:     hidden_grid_dims
    .group_segment_fixed_size: 8192
    .kernarg_segment_align: 8
    .kernarg_segment_size: 376
    .language:       OpenCL C
    .language_version:
      - 2
      - 0
    .max_flat_workgroup_size: 1024
    .name:           _ZL24rocblas_symm_hemm_kernelILb0ELb0ELi32EfPKfPfEvbiiT2_T3_lllS4_lllT4_llli
    .private_segment_fixed_size: 0
    .sgpr_count:     46
    .sgpr_spill_count: 0
    .symbol:         _ZL24rocblas_symm_hemm_kernelILb0ELb0ELi32EfPKfPfEvbiiT2_T3_lllS4_lllT4_llli.kd
    .uniform_work_group_size: 1
    .uses_dynamic_stack: false
    .vgpr_count:     40
    .vgpr_spill_count: 0
    .wavefront_size: 64
  - .agpr_count:     0
    .args:
      - .offset:         0
        .size:           1
        .value_kind:     by_value
      - .offset:         4
        .size:           4
        .value_kind:     by_value
      - .offset:         8
        .size:           4
        .value_kind:     by_value
      - .offset:         12
        .size:           4
        .value_kind:     by_value
      - .address_space:  global
        .offset:         16
        .size:           8
        .value_kind:     global_buffer
      - .offset:         24
        .size:           8
        .value_kind:     by_value
      - .offset:         32
        .size:           8
        .value_kind:     by_value
      - .offset:         40
        .size:           8
        .value_kind:     by_value
      - .address_space:  global
        .offset:         48
        .size:           8
        .value_kind:     global_buffer
      - .offset:         56
        .size:           8
        .value_kind:     by_value
      - .offset:         64
        .size:           8
        .value_kind:     by_value
      - .offset:         72
        .size:           8
        .value_kind:     by_value
      - .address_space:  global
        .offset:         80
        .size:           8
        .value_kind:     global_buffer
      - .offset:         88
        .size:           8
        .value_kind:     by_value
      - .offset:         96
        .size:           8
        .value_kind:     by_value
      - .offset:         104
        .size:           8
        .value_kind:     by_value
      - .offset:         112
        .size:           4
        .value_kind:     by_value
      - .offset:         120
        .size:           4
        .value_kind:     hidden_block_count_x
      - .offset:         124
        .size:           4
        .value_kind:     hidden_block_count_y
      - .offset:         128
        .size:           4
        .value_kind:     hidden_block_count_z
      - .offset:         132
        .size:           2
        .value_kind:     hidden_group_size_x
      - .offset:         134
        .size:           2
        .value_kind:     hidden_group_size_y
      - .offset:         136
        .size:           2
        .value_kind:     hidden_group_size_z
      - .offset:         138
        .size:           2
        .value_kind:     hidden_remainder_x
      - .offset:         140
        .size:           2
        .value_kind:     hidden_remainder_y
      - .offset:         142
        .size:           2
        .value_kind:     hidden_remainder_z
      - .offset:         160
        .size:           8
        .value_kind:     hidden_global_offset_x
      - .offset:         168
        .size:           8
        .value_kind:     hidden_global_offset_y
      - .offset:         176
        .size:           8
        .value_kind:     hidden_global_offset_z
      - .offset:         184
        .size:           2
        .value_kind:     hidden_grid_dims
    .group_segment_fixed_size: 8192
    .kernarg_segment_align: 8
    .kernarg_segment_size: 376
    .language:       OpenCL C
    .language_version:
      - 2
      - 0
    .max_flat_workgroup_size: 1024
    .name:           _ZL24rocblas_symm_hemm_kernelILb0ELb1ELi32EfPKfPfEvbiiT2_T3_lllS4_lllT4_llli
    .private_segment_fixed_size: 0
    .sgpr_count:     46
    .sgpr_spill_count: 0
    .symbol:         _ZL24rocblas_symm_hemm_kernelILb0ELb1ELi32EfPKfPfEvbiiT2_T3_lllS4_lllT4_llli.kd
    .uniform_work_group_size: 1
    .uses_dynamic_stack: false
    .vgpr_count:     40
    .vgpr_spill_count: 0
    .wavefront_size: 64
  - .agpr_count:     0
    .args:
      - .offset:         0
        .size:           4
        .value_kind:     by_value
      - .offset:         4
        .size:           4
        .value_kind:     by_value
      - .address_space:  global
        .offset:         8
        .size:           8
        .value_kind:     global_buffer
      - .address_space:  global
        .offset:         16
        .size:           8
        .value_kind:     global_buffer
      - .offset:         24
        .size:           8
        .value_kind:     by_value
      - .offset:         32
        .size:           8
        .value_kind:     by_value
      - .offset:         40
        .size:           8
        .value_kind:     by_value
      - .offset:         48
        .size:           4
        .value_kind:     by_value
      - .offset:         56
        .size:           4
        .value_kind:     hidden_block_count_x
      - .offset:         60
        .size:           4
        .value_kind:     hidden_block_count_y
      - .offset:         64
        .size:           4
        .value_kind:     hidden_block_count_z
      - .offset:         68
        .size:           2
        .value_kind:     hidden_group_size_x
      - .offset:         70
        .size:           2
        .value_kind:     hidden_group_size_y
      - .offset:         72
        .size:           2
        .value_kind:     hidden_group_size_z
      - .offset:         74
        .size:           2
        .value_kind:     hidden_remainder_x
      - .offset:         76
        .size:           2
        .value_kind:     hidden_remainder_y
      - .offset:         78
        .size:           2
        .value_kind:     hidden_remainder_z
      - .offset:         96
        .size:           8
        .value_kind:     hidden_global_offset_x
      - .offset:         104
        .size:           8
        .value_kind:     hidden_global_offset_y
      - .offset:         112
        .size:           8
        .value_kind:     hidden_global_offset_z
      - .offset:         120
        .size:           2
        .value_kind:     hidden_grid_dims
    .group_segment_fixed_size: 0
    .kernarg_segment_align: 8
    .kernarg_segment_size: 312
    .language:       OpenCL C
    .language_version:
      - 2
      - 0
    .max_flat_workgroup_size: 1024
    .name:           _ZL25rocblas_symm_scale_kernelILi128ELi8EPKdPdEviiT1_T2_llli
    .private_segment_fixed_size: 0
    .sgpr_count:     26
    .sgpr_spill_count: 0
    .symbol:         _ZL25rocblas_symm_scale_kernelILi128ELi8EPKdPdEviiT1_T2_llli.kd
    .uniform_work_group_size: 1
    .uses_dynamic_stack: false
    .vgpr_count:     8
    .vgpr_spill_count: 0
    .wavefront_size: 64
  - .agpr_count:     0
    .args:
      - .offset:         0
        .size:           1
        .value_kind:     by_value
      - .offset:         4
        .size:           4
        .value_kind:     by_value
      - .offset:         8
        .size:           4
        .value_kind:     by_value
      - .address_space:  global
        .offset:         16
        .size:           8
        .value_kind:     global_buffer
      - .address_space:  global
        .offset:         24
        .size:           8
        .value_kind:     global_buffer
      - .offset:         32
        .size:           8
        .value_kind:     by_value
      - .offset:         40
        .size:           8
        .value_kind:     by_value
      - .offset:         48
        .size:           8
        .value_kind:     by_value
      - .address_space:  global
        .offset:         56
        .size:           8
        .value_kind:     global_buffer
      - .offset:         64
        .size:           8
        .value_kind:     by_value
      - .offset:         72
        .size:           8
        .value_kind:     by_value
      - .offset:         80
        .size:           8
        .value_kind:     by_value
      - .address_space:  global
        .offset:         88
        .size:           8
        .value_kind:     global_buffer
      - .offset:         96
        .size:           8
        .value_kind:     by_value
      - .offset:         104
        .size:           8
        .value_kind:     by_value
      - .offset:         112
        .size:           8
        .value_kind:     by_value
      - .offset:         120
        .size:           4
        .value_kind:     by_value
      - .offset:         128
        .size:           4
        .value_kind:     hidden_block_count_x
      - .offset:         132
        .size:           4
        .value_kind:     hidden_block_count_y
      - .offset:         136
        .size:           4
        .value_kind:     hidden_block_count_z
      - .offset:         140
        .size:           2
        .value_kind:     hidden_group_size_x
      - .offset:         142
        .size:           2
        .value_kind:     hidden_group_size_y
      - .offset:         144
        .size:           2
        .value_kind:     hidden_group_size_z
      - .offset:         146
        .size:           2
        .value_kind:     hidden_remainder_x
      - .offset:         148
        .size:           2
        .value_kind:     hidden_remainder_y
      - .offset:         150
        .size:           2
        .value_kind:     hidden_remainder_z
      - .offset:         168
        .size:           8
        .value_kind:     hidden_global_offset_x
      - .offset:         176
        .size:           8
        .value_kind:     hidden_global_offset_y
      - .offset:         184
        .size:           8
        .value_kind:     hidden_global_offset_z
      - .offset:         192
        .size:           2
        .value_kind:     hidden_grid_dims
    .group_segment_fixed_size: 16384
    .kernarg_segment_align: 8
    .kernarg_segment_size: 384
    .language:       OpenCL C
    .language_version:
      - 2
      - 0
    .max_flat_workgroup_size: 1024
    .name:           _ZL24rocblas_symm_hemm_kernelILb0ELb0ELi32EPKdS1_PdEvbiiT2_T3_lllS4_lllT4_llli
    .private_segment_fixed_size: 0
    .sgpr_count:     46
    .sgpr_spill_count: 0
    .symbol:         _ZL24rocblas_symm_hemm_kernelILb0ELb0ELi32EPKdS1_PdEvbiiT2_T3_lllS4_lllT4_llli.kd
    .uniform_work_group_size: 1
    .uses_dynamic_stack: false
    .vgpr_count:     48
    .vgpr_spill_count: 0
    .wavefront_size: 64
  - .agpr_count:     0
    .args:
      - .offset:         0
        .size:           1
        .value_kind:     by_value
      - .offset:         4
        .size:           4
        .value_kind:     by_value
      - .offset:         8
        .size:           4
        .value_kind:     by_value
      - .address_space:  global
        .offset:         16
        .size:           8
        .value_kind:     global_buffer
      - .address_space:  global
        .offset:         24
        .size:           8
        .value_kind:     global_buffer
      - .offset:         32
        .size:           8
        .value_kind:     by_value
      - .offset:         40
        .size:           8
        .value_kind:     by_value
      - .offset:         48
        .size:           8
        .value_kind:     by_value
      - .address_space:  global
        .offset:         56
        .size:           8
        .value_kind:     global_buffer
      - .offset:         64
        .size:           8
        .value_kind:     by_value
      - .offset:         72
        .size:           8
        .value_kind:     by_value
      - .offset:         80
        .size:           8
        .value_kind:     by_value
      - .address_space:  global
        .offset:         88
        .size:           8
        .value_kind:     global_buffer
      - .offset:         96
        .size:           8
        .value_kind:     by_value
      - .offset:         104
        .size:           8
        .value_kind:     by_value
      - .offset:         112
        .size:           8
        .value_kind:     by_value
      - .offset:         120
        .size:           4
        .value_kind:     by_value
      - .offset:         128
        .size:           4
        .value_kind:     hidden_block_count_x
      - .offset:         132
        .size:           4
        .value_kind:     hidden_block_count_y
      - .offset:         136
        .size:           4
        .value_kind:     hidden_block_count_z
      - .offset:         140
        .size:           2
        .value_kind:     hidden_group_size_x
      - .offset:         142
        .size:           2
        .value_kind:     hidden_group_size_y
      - .offset:         144
        .size:           2
        .value_kind:     hidden_group_size_z
      - .offset:         146
        .size:           2
        .value_kind:     hidden_remainder_x
      - .offset:         148
        .size:           2
        .value_kind:     hidden_remainder_y
      - .offset:         150
        .size:           2
        .value_kind:     hidden_remainder_z
      - .offset:         168
        .size:           8
        .value_kind:     hidden_global_offset_x
      - .offset:         176
        .size:           8
        .value_kind:     hidden_global_offset_y
      - .offset:         184
        .size:           8
        .value_kind:     hidden_global_offset_z
      - .offset:         192
        .size:           2
        .value_kind:     hidden_grid_dims
    .group_segment_fixed_size: 16384
    .kernarg_segment_align: 8
    .kernarg_segment_size: 384
    .language:       OpenCL C
    .language_version:
      - 2
      - 0
    .max_flat_workgroup_size: 1024
    .name:           _ZL24rocblas_symm_hemm_kernelILb0ELb1ELi32EPKdS1_PdEvbiiT2_T3_lllS4_lllT4_llli
    .private_segment_fixed_size: 0
    .sgpr_count:     46
    .sgpr_spill_count: 0
    .symbol:         _ZL24rocblas_symm_hemm_kernelILb0ELb1ELi32EPKdS1_PdEvbiiT2_T3_lllS4_lllT4_llli.kd
    .uniform_work_group_size: 1
    .uses_dynamic_stack: false
    .vgpr_count:     48
    .vgpr_spill_count: 0
    .wavefront_size: 64
  - .agpr_count:     0
    .args:
      - .offset:         0
        .size:           4
        .value_kind:     by_value
      - .offset:         4
        .size:           4
        .value_kind:     by_value
      - .offset:         8
        .size:           8
        .value_kind:     by_value
      - .address_space:  global
        .offset:         16
        .size:           8
        .value_kind:     global_buffer
      - .offset:         24
        .size:           8
        .value_kind:     by_value
      - .offset:         32
        .size:           8
        .value_kind:     by_value
      - .offset:         40
        .size:           8
        .value_kind:     by_value
      - .offset:         48
        .size:           4
        .value_kind:     by_value
      - .offset:         56
        .size:           4
        .value_kind:     hidden_block_count_x
      - .offset:         60
        .size:           4
        .value_kind:     hidden_block_count_y
      - .offset:         64
        .size:           4
        .value_kind:     hidden_block_count_z
      - .offset:         68
        .size:           2
        .value_kind:     hidden_group_size_x
      - .offset:         70
        .size:           2
        .value_kind:     hidden_group_size_y
      - .offset:         72
        .size:           2
        .value_kind:     hidden_group_size_z
      - .offset:         74
        .size:           2
        .value_kind:     hidden_remainder_x
      - .offset:         76
        .size:           2
        .value_kind:     hidden_remainder_y
      - .offset:         78
        .size:           2
        .value_kind:     hidden_remainder_z
      - .offset:         96
        .size:           8
        .value_kind:     hidden_global_offset_x
      - .offset:         104
        .size:           8
        .value_kind:     hidden_global_offset_y
      - .offset:         112
        .size:           8
        .value_kind:     hidden_global_offset_z
      - .offset:         120
        .size:           2
        .value_kind:     hidden_grid_dims
    .group_segment_fixed_size: 0
    .kernarg_segment_align: 8
    .kernarg_segment_size: 312
    .language:       OpenCL C
    .language_version:
      - 2
      - 0
    .max_flat_workgroup_size: 1024
    .name:           _ZL25rocblas_symm_scale_kernelILi128ELi8EdPdEviiT1_T2_llli
    .private_segment_fixed_size: 0
    .sgpr_count:     26
    .sgpr_spill_count: 0
    .symbol:         _ZL25rocblas_symm_scale_kernelILi128ELi8EdPdEviiT1_T2_llli.kd
    .uniform_work_group_size: 1
    .uses_dynamic_stack: false
    .vgpr_count:     8
    .vgpr_spill_count: 0
    .wavefront_size: 64
  - .agpr_count:     0
    .args:
      - .offset:         0
        .size:           1
        .value_kind:     by_value
      - .offset:         4
        .size:           4
        .value_kind:     by_value
      - .offset:         8
        .size:           4
        .value_kind:     by_value
      - .offset:         16
        .size:           8
        .value_kind:     by_value
      - .address_space:  global
        .offset:         24
        .size:           8
        .value_kind:     global_buffer
      - .offset:         32
        .size:           8
        .value_kind:     by_value
      - .offset:         40
        .size:           8
        .value_kind:     by_value
      - .offset:         48
        .size:           8
        .value_kind:     by_value
      - .address_space:  global
        .offset:         56
        .size:           8
        .value_kind:     global_buffer
      - .offset:         64
        .size:           8
        .value_kind:     by_value
      - .offset:         72
        .size:           8
        .value_kind:     by_value
      - .offset:         80
        .size:           8
        .value_kind:     by_value
      - .address_space:  global
        .offset:         88
        .size:           8
        .value_kind:     global_buffer
      - .offset:         96
        .size:           8
        .value_kind:     by_value
      - .offset:         104
        .size:           8
        .value_kind:     by_value
      - .offset:         112
        .size:           8
        .value_kind:     by_value
      - .offset:         120
        .size:           4
        .value_kind:     by_value
      - .offset:         128
        .size:           4
        .value_kind:     hidden_block_count_x
      - .offset:         132
        .size:           4
        .value_kind:     hidden_block_count_y
      - .offset:         136
        .size:           4
        .value_kind:     hidden_block_count_z
      - .offset:         140
        .size:           2
        .value_kind:     hidden_group_size_x
      - .offset:         142
        .size:           2
        .value_kind:     hidden_group_size_y
      - .offset:         144
        .size:           2
        .value_kind:     hidden_group_size_z
      - .offset:         146
        .size:           2
        .value_kind:     hidden_remainder_x
      - .offset:         148
        .size:           2
        .value_kind:     hidden_remainder_y
      - .offset:         150
        .size:           2
        .value_kind:     hidden_remainder_z
      - .offset:         168
        .size:           8
        .value_kind:     hidden_global_offset_x
      - .offset:         176
        .size:           8
        .value_kind:     hidden_global_offset_y
      - .offset:         184
        .size:           8
        .value_kind:     hidden_global_offset_z
      - .offset:         192
        .size:           2
        .value_kind:     hidden_grid_dims
    .group_segment_fixed_size: 16384
    .kernarg_segment_align: 8
    .kernarg_segment_size: 384
    .language:       OpenCL C
    .language_version:
      - 2
      - 0
    .max_flat_workgroup_size: 1024
    .name:           _ZL24rocblas_symm_hemm_kernelILb0ELb0ELi32EdPKdPdEvbiiT2_T3_lllS4_lllT4_llli
    .private_segment_fixed_size: 0
    .sgpr_count:     50
    .sgpr_spill_count: 0
    .symbol:         _ZL24rocblas_symm_hemm_kernelILb0ELb0ELi32EdPKdPdEvbiiT2_T3_lllS4_lllT4_llli.kd
    .uniform_work_group_size: 1
    .uses_dynamic_stack: false
    .vgpr_count:     48
    .vgpr_spill_count: 0
    .wavefront_size: 64
  - .agpr_count:     0
    .args:
      - .offset:         0
        .size:           1
        .value_kind:     by_value
      - .offset:         4
        .size:           4
        .value_kind:     by_value
      - .offset:         8
        .size:           4
        .value_kind:     by_value
      - .offset:         16
        .size:           8
        .value_kind:     by_value
      - .address_space:  global
        .offset:         24
        .size:           8
        .value_kind:     global_buffer
      - .offset:         32
        .size:           8
        .value_kind:     by_value
      - .offset:         40
        .size:           8
        .value_kind:     by_value
      - .offset:         48
        .size:           8
        .value_kind:     by_value
      - .address_space:  global
        .offset:         56
        .size:           8
        .value_kind:     global_buffer
      - .offset:         64
        .size:           8
        .value_kind:     by_value
      - .offset:         72
        .size:           8
        .value_kind:     by_value
      - .offset:         80
        .size:           8
        .value_kind:     by_value
      - .address_space:  global
        .offset:         88
        .size:           8
        .value_kind:     global_buffer
      - .offset:         96
        .size:           8
        .value_kind:     by_value
      - .offset:         104
        .size:           8
        .value_kind:     by_value
      - .offset:         112
        .size:           8
        .value_kind:     by_value
      - .offset:         120
        .size:           4
        .value_kind:     by_value
      - .offset:         128
        .size:           4
        .value_kind:     hidden_block_count_x
      - .offset:         132
        .size:           4
        .value_kind:     hidden_block_count_y
      - .offset:         136
        .size:           4
        .value_kind:     hidden_block_count_z
      - .offset:         140
        .size:           2
        .value_kind:     hidden_group_size_x
      - .offset:         142
        .size:           2
        .value_kind:     hidden_group_size_y
      - .offset:         144
        .size:           2
        .value_kind:     hidden_group_size_z
      - .offset:         146
        .size:           2
        .value_kind:     hidden_remainder_x
      - .offset:         148
        .size:           2
        .value_kind:     hidden_remainder_y
      - .offset:         150
        .size:           2
        .value_kind:     hidden_remainder_z
      - .offset:         168
        .size:           8
        .value_kind:     hidden_global_offset_x
      - .offset:         176
        .size:           8
        .value_kind:     hidden_global_offset_y
      - .offset:         184
        .size:           8
        .value_kind:     hidden_global_offset_z
      - .offset:         192
        .size:           2
        .value_kind:     hidden_grid_dims
    .group_segment_fixed_size: 16384
    .kernarg_segment_align: 8
    .kernarg_segment_size: 384
    .language:       OpenCL C
    .language_version:
      - 2
      - 0
    .max_flat_workgroup_size: 1024
    .name:           _ZL24rocblas_symm_hemm_kernelILb0ELb1ELi32EdPKdPdEvbiiT2_T3_lllS4_lllT4_llli
    .private_segment_fixed_size: 0
    .sgpr_count:     46
    .sgpr_spill_count: 0
    .symbol:         _ZL24rocblas_symm_hemm_kernelILb0ELb1ELi32EdPKdPdEvbiiT2_T3_lllS4_lllT4_llli.kd
    .uniform_work_group_size: 1
    .uses_dynamic_stack: false
    .vgpr_count:     48
    .vgpr_spill_count: 0
    .wavefront_size: 64
  - .agpr_count:     0
    .args:
      - .offset:         0
        .size:           4
        .value_kind:     by_value
      - .offset:         4
        .size:           4
        .value_kind:     by_value
      - .address_space:  global
        .offset:         8
        .size:           8
        .value_kind:     global_buffer
      - .address_space:  global
        .offset:         16
        .size:           8
        .value_kind:     global_buffer
      - .offset:         24
        .size:           8
        .value_kind:     by_value
      - .offset:         32
        .size:           8
        .value_kind:     by_value
      - .offset:         40
        .size:           8
        .value_kind:     by_value
      - .offset:         48
        .size:           4
        .value_kind:     by_value
      - .offset:         56
        .size:           4
        .value_kind:     hidden_block_count_x
      - .offset:         60
        .size:           4
        .value_kind:     hidden_block_count_y
      - .offset:         64
        .size:           4
        .value_kind:     hidden_block_count_z
      - .offset:         68
        .size:           2
        .value_kind:     hidden_group_size_x
      - .offset:         70
        .size:           2
        .value_kind:     hidden_group_size_y
      - .offset:         72
        .size:           2
        .value_kind:     hidden_group_size_z
      - .offset:         74
        .size:           2
        .value_kind:     hidden_remainder_x
      - .offset:         76
        .size:           2
        .value_kind:     hidden_remainder_y
      - .offset:         78
        .size:           2
        .value_kind:     hidden_remainder_z
      - .offset:         96
        .size:           8
        .value_kind:     hidden_global_offset_x
      - .offset:         104
        .size:           8
        .value_kind:     hidden_global_offset_y
      - .offset:         112
        .size:           8
        .value_kind:     hidden_global_offset_z
      - .offset:         120
        .size:           2
        .value_kind:     hidden_grid_dims
    .group_segment_fixed_size: 0
    .kernarg_segment_align: 8
    .kernarg_segment_size: 312
    .language:       OpenCL C
    .language_version:
      - 2
      - 0
    .max_flat_workgroup_size: 1024
    .name:           _ZL25rocblas_symm_scale_kernelILi128ELi8EPK19rocblas_complex_numIfEPS1_EviiT1_T2_llli
    .private_segment_fixed_size: 0
    .sgpr_count:     26
    .sgpr_spill_count: 0
    .symbol:         _ZL25rocblas_symm_scale_kernelILi128ELi8EPK19rocblas_complex_numIfEPS1_EviiT1_T2_llli.kd
    .uniform_work_group_size: 1
    .uses_dynamic_stack: false
    .vgpr_count:     10
    .vgpr_spill_count: 0
    .wavefront_size: 64
  - .agpr_count:     0
    .args:
      - .offset:         0
        .size:           1
        .value_kind:     by_value
      - .offset:         4
        .size:           4
        .value_kind:     by_value
      - .offset:         8
        .size:           4
        .value_kind:     by_value
      - .address_space:  global
        .offset:         16
        .size:           8
        .value_kind:     global_buffer
      - .address_space:  global
        .offset:         24
        .size:           8
        .value_kind:     global_buffer
      - .offset:         32
        .size:           8
        .value_kind:     by_value
      - .offset:         40
        .size:           8
        .value_kind:     by_value
      - .offset:         48
        .size:           8
        .value_kind:     by_value
      - .address_space:  global
        .offset:         56
        .size:           8
        .value_kind:     global_buffer
      - .offset:         64
        .size:           8
        .value_kind:     by_value
      - .offset:         72
        .size:           8
        .value_kind:     by_value
      - .offset:         80
        .size:           8
        .value_kind:     by_value
      - .address_space:  global
        .offset:         88
        .size:           8
        .value_kind:     global_buffer
      - .offset:         96
        .size:           8
        .value_kind:     by_value
      - .offset:         104
        .size:           8
        .value_kind:     by_value
      - .offset:         112
        .size:           8
        .value_kind:     by_value
      - .offset:         120
        .size:           4
        .value_kind:     by_value
      - .offset:         128
        .size:           4
        .value_kind:     hidden_block_count_x
      - .offset:         132
        .size:           4
        .value_kind:     hidden_block_count_y
      - .offset:         136
        .size:           4
        .value_kind:     hidden_block_count_z
      - .offset:         140
        .size:           2
        .value_kind:     hidden_group_size_x
      - .offset:         142
        .size:           2
        .value_kind:     hidden_group_size_y
      - .offset:         144
        .size:           2
        .value_kind:     hidden_group_size_z
      - .offset:         146
        .size:           2
        .value_kind:     hidden_remainder_x
      - .offset:         148
        .size:           2
        .value_kind:     hidden_remainder_y
      - .offset:         150
        .size:           2
        .value_kind:     hidden_remainder_z
      - .offset:         168
        .size:           8
        .value_kind:     hidden_global_offset_x
      - .offset:         176
        .size:           8
        .value_kind:     hidden_global_offset_y
      - .offset:         184
        .size:           8
        .value_kind:     hidden_global_offset_z
      - .offset:         192
        .size:           2
        .value_kind:     hidden_grid_dims
    .group_segment_fixed_size: 16384
    .kernarg_segment_align: 8
    .kernarg_segment_size: 384
    .language:       OpenCL C
    .language_version:
      - 2
      - 0
    .max_flat_workgroup_size: 1024
    .name:           _ZL24rocblas_symm_hemm_kernelILb0ELb0ELi32EPK19rocblas_complex_numIfES3_PS1_EvbiiT2_T3_lllS6_lllT4_llli
    .private_segment_fixed_size: 0
    .sgpr_count:     46
    .sgpr_spill_count: 0
    .symbol:         _ZL24rocblas_symm_hemm_kernelILb0ELb0ELi32EPK19rocblas_complex_numIfES3_PS1_EvbiiT2_T3_lllS6_lllT4_llli.kd
    .uniform_work_group_size: 1
    .uses_dynamic_stack: false
    .vgpr_count:     40
    .vgpr_spill_count: 0
    .wavefront_size: 64
  - .agpr_count:     0
    .args:
      - .offset:         0
        .size:           1
        .value_kind:     by_value
      - .offset:         4
        .size:           4
        .value_kind:     by_value
      - .offset:         8
        .size:           4
        .value_kind:     by_value
      - .address_space:  global
        .offset:         16
        .size:           8
        .value_kind:     global_buffer
      - .address_space:  global
        .offset:         24
        .size:           8
        .value_kind:     global_buffer
      - .offset:         32
        .size:           8
        .value_kind:     by_value
      - .offset:         40
        .size:           8
        .value_kind:     by_value
      - .offset:         48
        .size:           8
        .value_kind:     by_value
      - .address_space:  global
        .offset:         56
        .size:           8
        .value_kind:     global_buffer
      - .offset:         64
        .size:           8
        .value_kind:     by_value
      - .offset:         72
        .size:           8
        .value_kind:     by_value
      - .offset:         80
        .size:           8
        .value_kind:     by_value
      - .address_space:  global
        .offset:         88
        .size:           8
        .value_kind:     global_buffer
      - .offset:         96
        .size:           8
        .value_kind:     by_value
      - .offset:         104
        .size:           8
        .value_kind:     by_value
      - .offset:         112
        .size:           8
        .value_kind:     by_value
      - .offset:         120
        .size:           4
        .value_kind:     by_value
      - .offset:         128
        .size:           4
        .value_kind:     hidden_block_count_x
      - .offset:         132
        .size:           4
        .value_kind:     hidden_block_count_y
      - .offset:         136
        .size:           4
        .value_kind:     hidden_block_count_z
      - .offset:         140
        .size:           2
        .value_kind:     hidden_group_size_x
      - .offset:         142
        .size:           2
        .value_kind:     hidden_group_size_y
      - .offset:         144
        .size:           2
        .value_kind:     hidden_group_size_z
      - .offset:         146
        .size:           2
        .value_kind:     hidden_remainder_x
      - .offset:         148
        .size:           2
        .value_kind:     hidden_remainder_y
      - .offset:         150
        .size:           2
        .value_kind:     hidden_remainder_z
      - .offset:         168
        .size:           8
        .value_kind:     hidden_global_offset_x
      - .offset:         176
        .size:           8
        .value_kind:     hidden_global_offset_y
      - .offset:         184
        .size:           8
        .value_kind:     hidden_global_offset_z
      - .offset:         192
        .size:           2
        .value_kind:     hidden_grid_dims
    .group_segment_fixed_size: 16384
    .kernarg_segment_align: 8
    .kernarg_segment_size: 384
    .language:       OpenCL C
    .language_version:
      - 2
      - 0
    .max_flat_workgroup_size: 1024
    .name:           _ZL24rocblas_symm_hemm_kernelILb0ELb1ELi32EPK19rocblas_complex_numIfES3_PS1_EvbiiT2_T3_lllS6_lllT4_llli
    .private_segment_fixed_size: 0
    .sgpr_count:     46
    .sgpr_spill_count: 0
    .symbol:         _ZL24rocblas_symm_hemm_kernelILb0ELb1ELi32EPK19rocblas_complex_numIfES3_PS1_EvbiiT2_T3_lllS6_lllT4_llli.kd
    .uniform_work_group_size: 1
    .uses_dynamic_stack: false
    .vgpr_count:     40
    .vgpr_spill_count: 0
    .wavefront_size: 64
  - .agpr_count:     0
    .args:
      - .offset:         0
        .size:           4
        .value_kind:     by_value
      - .offset:         4
        .size:           4
        .value_kind:     by_value
      - .offset:         8
        .size:           8
        .value_kind:     by_value
      - .address_space:  global
        .offset:         16
        .size:           8
        .value_kind:     global_buffer
      - .offset:         24
        .size:           8
        .value_kind:     by_value
      - .offset:         32
        .size:           8
        .value_kind:     by_value
      - .offset:         40
        .size:           8
        .value_kind:     by_value
      - .offset:         48
        .size:           4
        .value_kind:     by_value
      - .offset:         56
        .size:           4
        .value_kind:     hidden_block_count_x
      - .offset:         60
        .size:           4
        .value_kind:     hidden_block_count_y
      - .offset:         64
        .size:           4
        .value_kind:     hidden_block_count_z
      - .offset:         68
        .size:           2
        .value_kind:     hidden_group_size_x
      - .offset:         70
        .size:           2
        .value_kind:     hidden_group_size_y
      - .offset:         72
        .size:           2
        .value_kind:     hidden_group_size_z
      - .offset:         74
        .size:           2
        .value_kind:     hidden_remainder_x
      - .offset:         76
        .size:           2
        .value_kind:     hidden_remainder_y
      - .offset:         78
        .size:           2
        .value_kind:     hidden_remainder_z
      - .offset:         96
        .size:           8
        .value_kind:     hidden_global_offset_x
      - .offset:         104
        .size:           8
        .value_kind:     hidden_global_offset_y
      - .offset:         112
        .size:           8
        .value_kind:     hidden_global_offset_z
      - .offset:         120
        .size:           2
        .value_kind:     hidden_grid_dims
    .group_segment_fixed_size: 0
    .kernarg_segment_align: 8
    .kernarg_segment_size: 312
    .language:       OpenCL C
    .language_version:
      - 2
      - 0
    .max_flat_workgroup_size: 1024
    .name:           _ZL25rocblas_symm_scale_kernelILi128ELi8E19rocblas_complex_numIfEPS1_EviiT1_T2_llli
    .private_segment_fixed_size: 0
    .sgpr_count:     26
    .sgpr_spill_count: 0
    .symbol:         _ZL25rocblas_symm_scale_kernelILi128ELi8E19rocblas_complex_numIfEPS1_EviiT1_T2_llli.kd
    .uniform_work_group_size: 1
    .uses_dynamic_stack: false
    .vgpr_count:     10
    .vgpr_spill_count: 0
    .wavefront_size: 64
  - .agpr_count:     0
    .args:
      - .offset:         0
        .size:           1
        .value_kind:     by_value
      - .offset:         4
        .size:           4
        .value_kind:     by_value
      - .offset:         8
        .size:           4
        .value_kind:     by_value
      - .offset:         12
        .size:           8
        .value_kind:     by_value
      - .address_space:  global
        .offset:         24
        .size:           8
        .value_kind:     global_buffer
      - .offset:         32
        .size:           8
        .value_kind:     by_value
      - .offset:         40
        .size:           8
        .value_kind:     by_value
      - .offset:         48
        .size:           8
        .value_kind:     by_value
      - .address_space:  global
        .offset:         56
        .size:           8
        .value_kind:     global_buffer
      - .offset:         64
        .size:           8
        .value_kind:     by_value
      - .offset:         72
        .size:           8
        .value_kind:     by_value
      - .offset:         80
        .size:           8
        .value_kind:     by_value
      - .address_space:  global
        .offset:         88
        .size:           8
        .value_kind:     global_buffer
      - .offset:         96
        .size:           8
        .value_kind:     by_value
      - .offset:         104
        .size:           8
        .value_kind:     by_value
      - .offset:         112
        .size:           8
        .value_kind:     by_value
      - .offset:         120
        .size:           4
        .value_kind:     by_value
      - .offset:         128
        .size:           4
        .value_kind:     hidden_block_count_x
      - .offset:         132
        .size:           4
        .value_kind:     hidden_block_count_y
      - .offset:         136
        .size:           4
        .value_kind:     hidden_block_count_z
      - .offset:         140
        .size:           2
        .value_kind:     hidden_group_size_x
      - .offset:         142
        .size:           2
        .value_kind:     hidden_group_size_y
      - .offset:         144
        .size:           2
        .value_kind:     hidden_group_size_z
      - .offset:         146
        .size:           2
        .value_kind:     hidden_remainder_x
      - .offset:         148
        .size:           2
        .value_kind:     hidden_remainder_y
      - .offset:         150
        .size:           2
        .value_kind:     hidden_remainder_z
      - .offset:         168
        .size:           8
        .value_kind:     hidden_global_offset_x
      - .offset:         176
        .size:           8
        .value_kind:     hidden_global_offset_y
      - .offset:         184
        .size:           8
        .value_kind:     hidden_global_offset_z
      - .offset:         192
        .size:           2
        .value_kind:     hidden_grid_dims
    .group_segment_fixed_size: 16384
    .kernarg_segment_align: 8
    .kernarg_segment_size: 384
    .language:       OpenCL C
    .language_version:
      - 2
      - 0
    .max_flat_workgroup_size: 1024
    .name:           _ZL24rocblas_symm_hemm_kernelILb0ELb0ELi32E19rocblas_complex_numIfEPKS1_PS1_EvbiiT2_T3_lllS6_lllT4_llli
    .private_segment_fixed_size: 0
    .sgpr_count:     46
    .sgpr_spill_count: 0
    .symbol:         _ZL24rocblas_symm_hemm_kernelILb0ELb0ELi32E19rocblas_complex_numIfEPKS1_PS1_EvbiiT2_T3_lllS6_lllT4_llli.kd
    .uniform_work_group_size: 1
    .uses_dynamic_stack: false
    .vgpr_count:     40
    .vgpr_spill_count: 0
    .wavefront_size: 64
  - .agpr_count:     0
    .args:
      - .offset:         0
        .size:           1
        .value_kind:     by_value
      - .offset:         4
        .size:           4
        .value_kind:     by_value
      - .offset:         8
        .size:           4
        .value_kind:     by_value
      - .offset:         12
        .size:           8
        .value_kind:     by_value
      - .address_space:  global
        .offset:         24
        .size:           8
        .value_kind:     global_buffer
      - .offset:         32
        .size:           8
        .value_kind:     by_value
      - .offset:         40
        .size:           8
        .value_kind:     by_value
      - .offset:         48
        .size:           8
        .value_kind:     by_value
      - .address_space:  global
        .offset:         56
        .size:           8
        .value_kind:     global_buffer
      - .offset:         64
        .size:           8
        .value_kind:     by_value
      - .offset:         72
        .size:           8
        .value_kind:     by_value
      - .offset:         80
        .size:           8
        .value_kind:     by_value
      - .address_space:  global
        .offset:         88
        .size:           8
        .value_kind:     global_buffer
      - .offset:         96
        .size:           8
        .value_kind:     by_value
      - .offset:         104
        .size:           8
        .value_kind:     by_value
      - .offset:         112
        .size:           8
        .value_kind:     by_value
      - .offset:         120
        .size:           4
        .value_kind:     by_value
      - .offset:         128
        .size:           4
        .value_kind:     hidden_block_count_x
      - .offset:         132
        .size:           4
        .value_kind:     hidden_block_count_y
      - .offset:         136
        .size:           4
        .value_kind:     hidden_block_count_z
      - .offset:         140
        .size:           2
        .value_kind:     hidden_group_size_x
      - .offset:         142
        .size:           2
        .value_kind:     hidden_group_size_y
      - .offset:         144
        .size:           2
        .value_kind:     hidden_group_size_z
      - .offset:         146
        .size:           2
        .value_kind:     hidden_remainder_x
      - .offset:         148
        .size:           2
        .value_kind:     hidden_remainder_y
      - .offset:         150
        .size:           2
        .value_kind:     hidden_remainder_z
      - .offset:         168
        .size:           8
        .value_kind:     hidden_global_offset_x
      - .offset:         176
        .size:           8
        .value_kind:     hidden_global_offset_y
      - .offset:         184
        .size:           8
        .value_kind:     hidden_global_offset_z
      - .offset:         192
        .size:           2
        .value_kind:     hidden_grid_dims
    .group_segment_fixed_size: 16384
    .kernarg_segment_align: 8
    .kernarg_segment_size: 384
    .language:       OpenCL C
    .language_version:
      - 2
      - 0
    .max_flat_workgroup_size: 1024
    .name:           _ZL24rocblas_symm_hemm_kernelILb0ELb1ELi32E19rocblas_complex_numIfEPKS1_PS1_EvbiiT2_T3_lllS6_lllT4_llli
    .private_segment_fixed_size: 0
    .sgpr_count:     46
    .sgpr_spill_count: 0
    .symbol:         _ZL24rocblas_symm_hemm_kernelILb0ELb1ELi32E19rocblas_complex_numIfEPKS1_PS1_EvbiiT2_T3_lllS6_lllT4_llli.kd
    .uniform_work_group_size: 1
    .uses_dynamic_stack: false
    .vgpr_count:     40
    .vgpr_spill_count: 0
    .wavefront_size: 64
  - .agpr_count:     0
    .args:
      - .offset:         0
        .size:           4
        .value_kind:     by_value
      - .offset:         4
        .size:           4
        .value_kind:     by_value
      - .address_space:  global
        .offset:         8
        .size:           8
        .value_kind:     global_buffer
      - .address_space:  global
        .offset:         16
        .size:           8
        .value_kind:     global_buffer
      - .offset:         24
        .size:           8
        .value_kind:     by_value
      - .offset:         32
        .size:           8
        .value_kind:     by_value
      - .offset:         40
        .size:           8
        .value_kind:     by_value
      - .offset:         48
        .size:           4
        .value_kind:     by_value
      - .offset:         56
        .size:           4
        .value_kind:     hidden_block_count_x
      - .offset:         60
        .size:           4
        .value_kind:     hidden_block_count_y
      - .offset:         64
        .size:           4
        .value_kind:     hidden_block_count_z
      - .offset:         68
        .size:           2
        .value_kind:     hidden_group_size_x
      - .offset:         70
        .size:           2
        .value_kind:     hidden_group_size_y
      - .offset:         72
        .size:           2
        .value_kind:     hidden_group_size_z
      - .offset:         74
        .size:           2
        .value_kind:     hidden_remainder_x
      - .offset:         76
        .size:           2
        .value_kind:     hidden_remainder_y
      - .offset:         78
        .size:           2
        .value_kind:     hidden_remainder_z
      - .offset:         96
        .size:           8
        .value_kind:     hidden_global_offset_x
      - .offset:         104
        .size:           8
        .value_kind:     hidden_global_offset_y
      - .offset:         112
        .size:           8
        .value_kind:     hidden_global_offset_z
      - .offset:         120
        .size:           2
        .value_kind:     hidden_grid_dims
    .group_segment_fixed_size: 0
    .kernarg_segment_align: 8
    .kernarg_segment_size: 312
    .language:       OpenCL C
    .language_version:
      - 2
      - 0
    .max_flat_workgroup_size: 1024
    .name:           _ZL25rocblas_symm_scale_kernelILi128ELi8EPK19rocblas_complex_numIdEPS1_EviiT1_T2_llli
    .private_segment_fixed_size: 0
    .sgpr_count:     28
    .sgpr_spill_count: 0
    .symbol:         _ZL25rocblas_symm_scale_kernelILi128ELi8EPK19rocblas_complex_numIdEPS1_EviiT1_T2_llli.kd
    .uniform_work_group_size: 1
    .uses_dynamic_stack: false
    .vgpr_count:     12
    .vgpr_spill_count: 0
    .wavefront_size: 64
  - .agpr_count:     0
    .args:
      - .offset:         0
        .size:           1
        .value_kind:     by_value
      - .offset:         4
        .size:           4
        .value_kind:     by_value
      - .offset:         8
        .size:           4
        .value_kind:     by_value
      - .address_space:  global
        .offset:         16
        .size:           8
        .value_kind:     global_buffer
      - .address_space:  global
        .offset:         24
        .size:           8
        .value_kind:     global_buffer
      - .offset:         32
        .size:           8
        .value_kind:     by_value
      - .offset:         40
        .size:           8
        .value_kind:     by_value
      - .offset:         48
        .size:           8
        .value_kind:     by_value
      - .address_space:  global
        .offset:         56
        .size:           8
        .value_kind:     global_buffer
      - .offset:         64
        .size:           8
        .value_kind:     by_value
      - .offset:         72
        .size:           8
        .value_kind:     by_value
      - .offset:         80
        .size:           8
        .value_kind:     by_value
      - .address_space:  global
        .offset:         88
        .size:           8
        .value_kind:     global_buffer
      - .offset:         96
        .size:           8
        .value_kind:     by_value
      - .offset:         104
        .size:           8
        .value_kind:     by_value
      - .offset:         112
        .size:           8
        .value_kind:     by_value
      - .offset:         120
        .size:           4
        .value_kind:     by_value
      - .offset:         128
        .size:           4
        .value_kind:     hidden_block_count_x
      - .offset:         132
        .size:           4
        .value_kind:     hidden_block_count_y
      - .offset:         136
        .size:           4
        .value_kind:     hidden_block_count_z
      - .offset:         140
        .size:           2
        .value_kind:     hidden_group_size_x
      - .offset:         142
        .size:           2
        .value_kind:     hidden_group_size_y
      - .offset:         144
        .size:           2
        .value_kind:     hidden_group_size_z
      - .offset:         146
        .size:           2
        .value_kind:     hidden_remainder_x
      - .offset:         148
        .size:           2
        .value_kind:     hidden_remainder_y
      - .offset:         150
        .size:           2
        .value_kind:     hidden_remainder_z
      - .offset:         168
        .size:           8
        .value_kind:     hidden_global_offset_x
      - .offset:         176
        .size:           8
        .value_kind:     hidden_global_offset_y
      - .offset:         184
        .size:           8
        .value_kind:     hidden_global_offset_z
      - .offset:         192
        .size:           2
        .value_kind:     hidden_grid_dims
    .group_segment_fixed_size: 32768
    .kernarg_segment_align: 8
    .kernarg_segment_size: 384
    .language:       OpenCL C
    .language_version:
      - 2
      - 0
    .max_flat_workgroup_size: 1024
    .name:           _ZL24rocblas_symm_hemm_kernelILb0ELb0ELi32EPK19rocblas_complex_numIdES3_PS1_EvbiiT2_T3_lllS6_lllT4_llli
    .private_segment_fixed_size: 0
    .sgpr_count:     50
    .sgpr_spill_count: 0
    .symbol:         _ZL24rocblas_symm_hemm_kernelILb0ELb0ELi32EPK19rocblas_complex_numIdES3_PS1_EvbiiT2_T3_lllS6_lllT4_llli.kd
    .uniform_work_group_size: 1
    .uses_dynamic_stack: false
    .vgpr_count:     40
    .vgpr_spill_count: 0
    .wavefront_size: 64
  - .agpr_count:     0
    .args:
      - .offset:         0
        .size:           1
        .value_kind:     by_value
      - .offset:         4
        .size:           4
        .value_kind:     by_value
      - .offset:         8
        .size:           4
        .value_kind:     by_value
      - .address_space:  global
        .offset:         16
        .size:           8
        .value_kind:     global_buffer
      - .address_space:  global
        .offset:         24
        .size:           8
        .value_kind:     global_buffer
      - .offset:         32
        .size:           8
        .value_kind:     by_value
      - .offset:         40
        .size:           8
        .value_kind:     by_value
      - .offset:         48
        .size:           8
        .value_kind:     by_value
      - .address_space:  global
        .offset:         56
        .size:           8
        .value_kind:     global_buffer
      - .offset:         64
        .size:           8
        .value_kind:     by_value
      - .offset:         72
        .size:           8
        .value_kind:     by_value
      - .offset:         80
        .size:           8
        .value_kind:     by_value
      - .address_space:  global
        .offset:         88
        .size:           8
        .value_kind:     global_buffer
      - .offset:         96
        .size:           8
        .value_kind:     by_value
      - .offset:         104
        .size:           8
        .value_kind:     by_value
      - .offset:         112
        .size:           8
        .value_kind:     by_value
      - .offset:         120
        .size:           4
        .value_kind:     by_value
      - .offset:         128
        .size:           4
        .value_kind:     hidden_block_count_x
      - .offset:         132
        .size:           4
        .value_kind:     hidden_block_count_y
      - .offset:         136
        .size:           4
        .value_kind:     hidden_block_count_z
      - .offset:         140
        .size:           2
        .value_kind:     hidden_group_size_x
      - .offset:         142
        .size:           2
        .value_kind:     hidden_group_size_y
      - .offset:         144
        .size:           2
        .value_kind:     hidden_group_size_z
      - .offset:         146
        .size:           2
        .value_kind:     hidden_remainder_x
      - .offset:         148
        .size:           2
        .value_kind:     hidden_remainder_y
      - .offset:         150
        .size:           2
        .value_kind:     hidden_remainder_z
      - .offset:         168
        .size:           8
        .value_kind:     hidden_global_offset_x
      - .offset:         176
        .size:           8
        .value_kind:     hidden_global_offset_y
      - .offset:         184
        .size:           8
        .value_kind:     hidden_global_offset_z
      - .offset:         192
        .size:           2
        .value_kind:     hidden_grid_dims
    .group_segment_fixed_size: 32768
    .kernarg_segment_align: 8
    .kernarg_segment_size: 384
    .language:       OpenCL C
    .language_version:
      - 2
      - 0
    .max_flat_workgroup_size: 1024
    .name:           _ZL24rocblas_symm_hemm_kernelILb0ELb1ELi32EPK19rocblas_complex_numIdES3_PS1_EvbiiT2_T3_lllS6_lllT4_llli
    .private_segment_fixed_size: 0
    .sgpr_count:     50
    .sgpr_spill_count: 0
    .symbol:         _ZL24rocblas_symm_hemm_kernelILb0ELb1ELi32EPK19rocblas_complex_numIdES3_PS1_EvbiiT2_T3_lllS6_lllT4_llli.kd
    .uniform_work_group_size: 1
    .uses_dynamic_stack: false
    .vgpr_count:     40
    .vgpr_spill_count: 0
    .wavefront_size: 64
  - .agpr_count:     0
    .args:
      - .offset:         0
        .size:           4
        .value_kind:     by_value
      - .offset:         4
        .size:           4
        .value_kind:     by_value
      - .offset:         8
        .size:           16
        .value_kind:     by_value
      - .address_space:  global
        .offset:         24
        .size:           8
        .value_kind:     global_buffer
      - .offset:         32
        .size:           8
        .value_kind:     by_value
      - .offset:         40
        .size:           8
        .value_kind:     by_value
      - .offset:         48
        .size:           8
        .value_kind:     by_value
      - .offset:         56
        .size:           4
        .value_kind:     by_value
      - .offset:         64
        .size:           4
        .value_kind:     hidden_block_count_x
      - .offset:         68
        .size:           4
        .value_kind:     hidden_block_count_y
      - .offset:         72
        .size:           4
        .value_kind:     hidden_block_count_z
      - .offset:         76
        .size:           2
        .value_kind:     hidden_group_size_x
      - .offset:         78
        .size:           2
        .value_kind:     hidden_group_size_y
      - .offset:         80
        .size:           2
        .value_kind:     hidden_group_size_z
      - .offset:         82
        .size:           2
        .value_kind:     hidden_remainder_x
      - .offset:         84
        .size:           2
        .value_kind:     hidden_remainder_y
      - .offset:         86
        .size:           2
        .value_kind:     hidden_remainder_z
      - .offset:         104
        .size:           8
        .value_kind:     hidden_global_offset_x
      - .offset:         112
        .size:           8
        .value_kind:     hidden_global_offset_y
      - .offset:         120
        .size:           8
        .value_kind:     hidden_global_offset_z
      - .offset:         128
        .size:           2
        .value_kind:     hidden_grid_dims
    .group_segment_fixed_size: 0
    .kernarg_segment_align: 8
    .kernarg_segment_size: 320
    .language:       OpenCL C
    .language_version:
      - 2
      - 0
    .max_flat_workgroup_size: 1024
    .name:           _ZL25rocblas_symm_scale_kernelILi128ELi8E19rocblas_complex_numIdEPS1_EviiT1_T2_llli
    .private_segment_fixed_size: 0
    .sgpr_count:     30
    .sgpr_spill_count: 0
    .symbol:         _ZL25rocblas_symm_scale_kernelILi128ELi8E19rocblas_complex_numIdEPS1_EviiT1_T2_llli.kd
    .uniform_work_group_size: 1
    .uses_dynamic_stack: false
    .vgpr_count:     12
    .vgpr_spill_count: 0
    .wavefront_size: 64
  - .agpr_count:     0
    .args:
      - .offset:         0
        .size:           1
        .value_kind:     by_value
      - .offset:         4
        .size:           4
        .value_kind:     by_value
      - .offset:         8
        .size:           4
        .value_kind:     by_value
      - .offset:         16
        .size:           16
        .value_kind:     by_value
      - .address_space:  global
        .offset:         32
        .size:           8
        .value_kind:     global_buffer
      - .offset:         40
        .size:           8
        .value_kind:     by_value
      - .offset:         48
        .size:           8
        .value_kind:     by_value
      - .offset:         56
        .size:           8
        .value_kind:     by_value
      - .address_space:  global
        .offset:         64
        .size:           8
        .value_kind:     global_buffer
      - .offset:         72
        .size:           8
        .value_kind:     by_value
      - .offset:         80
        .size:           8
        .value_kind:     by_value
      - .offset:         88
        .size:           8
        .value_kind:     by_value
      - .address_space:  global
        .offset:         96
        .size:           8
        .value_kind:     global_buffer
      - .offset:         104
        .size:           8
        .value_kind:     by_value
      - .offset:         112
        .size:           8
        .value_kind:     by_value
      - .offset:         120
        .size:           8
        .value_kind:     by_value
      - .offset:         128
        .size:           4
        .value_kind:     by_value
      - .offset:         136
        .size:           4
        .value_kind:     hidden_block_count_x
      - .offset:         140
        .size:           4
        .value_kind:     hidden_block_count_y
      - .offset:         144
        .size:           4
        .value_kind:     hidden_block_count_z
      - .offset:         148
        .size:           2
        .value_kind:     hidden_group_size_x
      - .offset:         150
        .size:           2
        .value_kind:     hidden_group_size_y
      - .offset:         152
        .size:           2
        .value_kind:     hidden_group_size_z
      - .offset:         154
        .size:           2
        .value_kind:     hidden_remainder_x
      - .offset:         156
        .size:           2
        .value_kind:     hidden_remainder_y
      - .offset:         158
        .size:           2
        .value_kind:     hidden_remainder_z
      - .offset:         176
        .size:           8
        .value_kind:     hidden_global_offset_x
      - .offset:         184
        .size:           8
        .value_kind:     hidden_global_offset_y
      - .offset:         192
        .size:           8
        .value_kind:     hidden_global_offset_z
      - .offset:         200
        .size:           2
        .value_kind:     hidden_grid_dims
    .group_segment_fixed_size: 32768
    .kernarg_segment_align: 8
    .kernarg_segment_size: 392
    .language:       OpenCL C
    .language_version:
      - 2
      - 0
    .max_flat_workgroup_size: 1024
    .name:           _ZL24rocblas_symm_hemm_kernelILb0ELb0ELi32E19rocblas_complex_numIdEPKS1_PS1_EvbiiT2_T3_lllS6_lllT4_llli
    .private_segment_fixed_size: 0
    .sgpr_count:     54
    .sgpr_spill_count: 0
    .symbol:         _ZL24rocblas_symm_hemm_kernelILb0ELb0ELi32E19rocblas_complex_numIdEPKS1_PS1_EvbiiT2_T3_lllS6_lllT4_llli.kd
    .uniform_work_group_size: 1
    .uses_dynamic_stack: false
    .vgpr_count:     40
    .vgpr_spill_count: 0
    .wavefront_size: 64
  - .agpr_count:     0
    .args:
      - .offset:         0
        .size:           1
        .value_kind:     by_value
      - .offset:         4
        .size:           4
        .value_kind:     by_value
      - .offset:         8
        .size:           4
        .value_kind:     by_value
      - .offset:         16
        .size:           16
        .value_kind:     by_value
      - .address_space:  global
        .offset:         32
        .size:           8
        .value_kind:     global_buffer
      - .offset:         40
        .size:           8
        .value_kind:     by_value
      - .offset:         48
        .size:           8
        .value_kind:     by_value
      - .offset:         56
        .size:           8
        .value_kind:     by_value
      - .address_space:  global
        .offset:         64
        .size:           8
        .value_kind:     global_buffer
      - .offset:         72
        .size:           8
        .value_kind:     by_value
      - .offset:         80
        .size:           8
        .value_kind:     by_value
      - .offset:         88
        .size:           8
        .value_kind:     by_value
      - .address_space:  global
        .offset:         96
        .size:           8
        .value_kind:     global_buffer
      - .offset:         104
        .size:           8
        .value_kind:     by_value
      - .offset:         112
        .size:           8
        .value_kind:     by_value
      - .offset:         120
        .size:           8
        .value_kind:     by_value
      - .offset:         128
        .size:           4
        .value_kind:     by_value
      - .offset:         136
        .size:           4
        .value_kind:     hidden_block_count_x
      - .offset:         140
        .size:           4
        .value_kind:     hidden_block_count_y
      - .offset:         144
        .size:           4
        .value_kind:     hidden_block_count_z
      - .offset:         148
        .size:           2
        .value_kind:     hidden_group_size_x
      - .offset:         150
        .size:           2
        .value_kind:     hidden_group_size_y
      - .offset:         152
        .size:           2
        .value_kind:     hidden_group_size_z
      - .offset:         154
        .size:           2
        .value_kind:     hidden_remainder_x
      - .offset:         156
        .size:           2
        .value_kind:     hidden_remainder_y
      - .offset:         158
        .size:           2
        .value_kind:     hidden_remainder_z
      - .offset:         176
        .size:           8
        .value_kind:     hidden_global_offset_x
      - .offset:         184
        .size:           8
        .value_kind:     hidden_global_offset_y
      - .offset:         192
        .size:           8
        .value_kind:     hidden_global_offset_z
      - .offset:         200
        .size:           2
        .value_kind:     hidden_grid_dims
    .group_segment_fixed_size: 32768
    .kernarg_segment_align: 8
    .kernarg_segment_size: 392
    .language:       OpenCL C
    .language_version:
      - 2
      - 0
    .max_flat_workgroup_size: 1024
    .name:           _ZL24rocblas_symm_hemm_kernelILb0ELb1ELi32E19rocblas_complex_numIdEPKS1_PS1_EvbiiT2_T3_lllS6_lllT4_llli
    .private_segment_fixed_size: 0
    .sgpr_count:     46
    .sgpr_spill_count: 0
    .symbol:         _ZL24rocblas_symm_hemm_kernelILb0ELb1ELi32E19rocblas_complex_numIdEPKS1_PS1_EvbiiT2_T3_lllS6_lllT4_llli.kd
    .uniform_work_group_size: 1
    .uses_dynamic_stack: false
    .vgpr_count:     40
    .vgpr_spill_count: 0
    .wavefront_size: 64
  - .agpr_count:     0
    .args:
      - .offset:         0
        .size:           1
        .value_kind:     by_value
      - .offset:         4
        .size:           4
        .value_kind:     by_value
      - .offset:         8
        .size:           4
        .value_kind:     by_value
      - .address_space:  global
        .offset:         16
        .size:           8
        .value_kind:     global_buffer
      - .address_space:  global
        .offset:         24
        .size:           8
        .value_kind:     global_buffer
      - .offset:         32
        .size:           8
        .value_kind:     by_value
      - .offset:         40
        .size:           8
        .value_kind:     by_value
      - .offset:         48
        .size:           8
        .value_kind:     by_value
      - .address_space:  global
        .offset:         56
        .size:           8
        .value_kind:     global_buffer
      - .offset:         64
        .size:           8
        .value_kind:     by_value
      - .offset:         72
        .size:           8
        .value_kind:     by_value
      - .offset:         80
        .size:           8
        .value_kind:     by_value
      - .address_space:  global
        .offset:         88
        .size:           8
        .value_kind:     global_buffer
      - .offset:         96
        .size:           8
        .value_kind:     by_value
      - .offset:         104
        .size:           8
        .value_kind:     by_value
      - .offset:         112
        .size:           8
        .value_kind:     by_value
      - .offset:         120
        .size:           4
        .value_kind:     by_value
      - .offset:         128
        .size:           4
        .value_kind:     hidden_block_count_x
      - .offset:         132
        .size:           4
        .value_kind:     hidden_block_count_y
      - .offset:         136
        .size:           4
        .value_kind:     hidden_block_count_z
      - .offset:         140
        .size:           2
        .value_kind:     hidden_group_size_x
      - .offset:         142
        .size:           2
        .value_kind:     hidden_group_size_y
      - .offset:         144
        .size:           2
        .value_kind:     hidden_group_size_z
      - .offset:         146
        .size:           2
        .value_kind:     hidden_remainder_x
      - .offset:         148
        .size:           2
        .value_kind:     hidden_remainder_y
      - .offset:         150
        .size:           2
        .value_kind:     hidden_remainder_z
      - .offset:         168
        .size:           8
        .value_kind:     hidden_global_offset_x
      - .offset:         176
        .size:           8
        .value_kind:     hidden_global_offset_y
      - .offset:         184
        .size:           8
        .value_kind:     hidden_global_offset_z
      - .offset:         192
        .size:           2
        .value_kind:     hidden_grid_dims
    .group_segment_fixed_size: 16384
    .kernarg_segment_align: 8
    .kernarg_segment_size: 384
    .language:       OpenCL C
    .language_version:
      - 2
      - 0
    .max_flat_workgroup_size: 1024
    .name:           _ZL24rocblas_symm_hemm_kernelILb1ELb0ELi32EPK19rocblas_complex_numIfES3_PS1_EvbiiT2_T3_lllS6_lllT4_llli
    .private_segment_fixed_size: 0
    .sgpr_count:     46
    .sgpr_spill_count: 0
    .symbol:         _ZL24rocblas_symm_hemm_kernelILb1ELb0ELi32EPK19rocblas_complex_numIfES3_PS1_EvbiiT2_T3_lllS6_lllT4_llli.kd
    .uniform_work_group_size: 1
    .uses_dynamic_stack: false
    .vgpr_count:     46
    .vgpr_spill_count: 0
    .wavefront_size: 64
  - .agpr_count:     0
    .args:
      - .offset:         0
        .size:           1
        .value_kind:     by_value
      - .offset:         4
        .size:           4
        .value_kind:     by_value
      - .offset:         8
        .size:           4
        .value_kind:     by_value
      - .address_space:  global
        .offset:         16
        .size:           8
        .value_kind:     global_buffer
      - .address_space:  global
        .offset:         24
        .size:           8
        .value_kind:     global_buffer
      - .offset:         32
        .size:           8
        .value_kind:     by_value
      - .offset:         40
        .size:           8
        .value_kind:     by_value
      - .offset:         48
        .size:           8
        .value_kind:     by_value
      - .address_space:  global
        .offset:         56
        .size:           8
        .value_kind:     global_buffer
      - .offset:         64
        .size:           8
        .value_kind:     by_value
      - .offset:         72
        .size:           8
        .value_kind:     by_value
      - .offset:         80
        .size:           8
        .value_kind:     by_value
      - .address_space:  global
        .offset:         88
        .size:           8
        .value_kind:     global_buffer
      - .offset:         96
        .size:           8
        .value_kind:     by_value
      - .offset:         104
        .size:           8
        .value_kind:     by_value
      - .offset:         112
        .size:           8
        .value_kind:     by_value
      - .offset:         120
        .size:           4
        .value_kind:     by_value
      - .offset:         128
        .size:           4
        .value_kind:     hidden_block_count_x
      - .offset:         132
        .size:           4
        .value_kind:     hidden_block_count_y
      - .offset:         136
        .size:           4
        .value_kind:     hidden_block_count_z
      - .offset:         140
        .size:           2
        .value_kind:     hidden_group_size_x
      - .offset:         142
        .size:           2
        .value_kind:     hidden_group_size_y
      - .offset:         144
        .size:           2
        .value_kind:     hidden_group_size_z
      - .offset:         146
        .size:           2
        .value_kind:     hidden_remainder_x
      - .offset:         148
        .size:           2
        .value_kind:     hidden_remainder_y
      - .offset:         150
        .size:           2
        .value_kind:     hidden_remainder_z
      - .offset:         168
        .size:           8
        .value_kind:     hidden_global_offset_x
      - .offset:         176
        .size:           8
        .value_kind:     hidden_global_offset_y
      - .offset:         184
        .size:           8
        .value_kind:     hidden_global_offset_z
      - .offset:         192
        .size:           2
        .value_kind:     hidden_grid_dims
    .group_segment_fixed_size: 16384
    .kernarg_segment_align: 8
    .kernarg_segment_size: 384
    .language:       OpenCL C
    .language_version:
      - 2
      - 0
    .max_flat_workgroup_size: 1024
    .name:           _ZL24rocblas_symm_hemm_kernelILb1ELb1ELi32EPK19rocblas_complex_numIfES3_PS1_EvbiiT2_T3_lllS6_lllT4_llli
    .private_segment_fixed_size: 0
    .sgpr_count:     46
    .sgpr_spill_count: 0
    .symbol:         _ZL24rocblas_symm_hemm_kernelILb1ELb1ELi32EPK19rocblas_complex_numIfES3_PS1_EvbiiT2_T3_lllS6_lllT4_llli.kd
    .uniform_work_group_size: 1
    .uses_dynamic_stack: false
    .vgpr_count:     48
    .vgpr_spill_count: 0
    .wavefront_size: 64
  - .agpr_count:     0
    .args:
      - .offset:         0
        .size:           1
        .value_kind:     by_value
      - .offset:         4
        .size:           4
        .value_kind:     by_value
      - .offset:         8
        .size:           4
        .value_kind:     by_value
      - .offset:         12
        .size:           8
        .value_kind:     by_value
      - .address_space:  global
        .offset:         24
        .size:           8
        .value_kind:     global_buffer
      - .offset:         32
        .size:           8
        .value_kind:     by_value
      - .offset:         40
        .size:           8
        .value_kind:     by_value
      - .offset:         48
        .size:           8
        .value_kind:     by_value
      - .address_space:  global
        .offset:         56
        .size:           8
        .value_kind:     global_buffer
      - .offset:         64
        .size:           8
        .value_kind:     by_value
      - .offset:         72
        .size:           8
        .value_kind:     by_value
      - .offset:         80
        .size:           8
        .value_kind:     by_value
      - .address_space:  global
        .offset:         88
        .size:           8
        .value_kind:     global_buffer
      - .offset:         96
        .size:           8
        .value_kind:     by_value
      - .offset:         104
        .size:           8
        .value_kind:     by_value
      - .offset:         112
        .size:           8
        .value_kind:     by_value
      - .offset:         120
        .size:           4
        .value_kind:     by_value
      - .offset:         128
        .size:           4
        .value_kind:     hidden_block_count_x
      - .offset:         132
        .size:           4
        .value_kind:     hidden_block_count_y
      - .offset:         136
        .size:           4
        .value_kind:     hidden_block_count_z
      - .offset:         140
        .size:           2
        .value_kind:     hidden_group_size_x
      - .offset:         142
        .size:           2
        .value_kind:     hidden_group_size_y
      - .offset:         144
        .size:           2
        .value_kind:     hidden_group_size_z
      - .offset:         146
        .size:           2
        .value_kind:     hidden_remainder_x
      - .offset:         148
        .size:           2
        .value_kind:     hidden_remainder_y
      - .offset:         150
        .size:           2
        .value_kind:     hidden_remainder_z
      - .offset:         168
        .size:           8
        .value_kind:     hidden_global_offset_x
      - .offset:         176
        .size:           8
        .value_kind:     hidden_global_offset_y
      - .offset:         184
        .size:           8
        .value_kind:     hidden_global_offset_z
      - .offset:         192
        .size:           2
        .value_kind:     hidden_grid_dims
    .group_segment_fixed_size: 16384
    .kernarg_segment_align: 8
    .kernarg_segment_size: 384
    .language:       OpenCL C
    .language_version:
      - 2
      - 0
    .max_flat_workgroup_size: 1024
    .name:           _ZL24rocblas_symm_hemm_kernelILb1ELb0ELi32E19rocblas_complex_numIfEPKS1_PS1_EvbiiT2_T3_lllS6_lllT4_llli
    .private_segment_fixed_size: 0
    .sgpr_count:     46
    .sgpr_spill_count: 0
    .symbol:         _ZL24rocblas_symm_hemm_kernelILb1ELb0ELi32E19rocblas_complex_numIfEPKS1_PS1_EvbiiT2_T3_lllS6_lllT4_llli.kd
    .uniform_work_group_size: 1
    .uses_dynamic_stack: false
    .vgpr_count:     46
    .vgpr_spill_count: 0
    .wavefront_size: 64
  - .agpr_count:     0
    .args:
      - .offset:         0
        .size:           1
        .value_kind:     by_value
      - .offset:         4
        .size:           4
        .value_kind:     by_value
      - .offset:         8
        .size:           4
        .value_kind:     by_value
      - .offset:         12
        .size:           8
        .value_kind:     by_value
      - .address_space:  global
        .offset:         24
        .size:           8
        .value_kind:     global_buffer
      - .offset:         32
        .size:           8
        .value_kind:     by_value
      - .offset:         40
        .size:           8
        .value_kind:     by_value
      - .offset:         48
        .size:           8
        .value_kind:     by_value
      - .address_space:  global
        .offset:         56
        .size:           8
        .value_kind:     global_buffer
      - .offset:         64
        .size:           8
        .value_kind:     by_value
      - .offset:         72
        .size:           8
        .value_kind:     by_value
      - .offset:         80
        .size:           8
        .value_kind:     by_value
      - .address_space:  global
        .offset:         88
        .size:           8
        .value_kind:     global_buffer
      - .offset:         96
        .size:           8
        .value_kind:     by_value
      - .offset:         104
        .size:           8
        .value_kind:     by_value
      - .offset:         112
        .size:           8
        .value_kind:     by_value
      - .offset:         120
        .size:           4
        .value_kind:     by_value
      - .offset:         128
        .size:           4
        .value_kind:     hidden_block_count_x
      - .offset:         132
        .size:           4
        .value_kind:     hidden_block_count_y
      - .offset:         136
        .size:           4
        .value_kind:     hidden_block_count_z
      - .offset:         140
        .size:           2
        .value_kind:     hidden_group_size_x
      - .offset:         142
        .size:           2
        .value_kind:     hidden_group_size_y
      - .offset:         144
        .size:           2
        .value_kind:     hidden_group_size_z
      - .offset:         146
        .size:           2
        .value_kind:     hidden_remainder_x
      - .offset:         148
        .size:           2
        .value_kind:     hidden_remainder_y
      - .offset:         150
        .size:           2
        .value_kind:     hidden_remainder_z
      - .offset:         168
        .size:           8
        .value_kind:     hidden_global_offset_x
      - .offset:         176
        .size:           8
        .value_kind:     hidden_global_offset_y
      - .offset:         184
        .size:           8
        .value_kind:     hidden_global_offset_z
      - .offset:         192
        .size:           2
        .value_kind:     hidden_grid_dims
    .group_segment_fixed_size: 16384
    .kernarg_segment_align: 8
    .kernarg_segment_size: 384
    .language:       OpenCL C
    .language_version:
      - 2
      - 0
    .max_flat_workgroup_size: 1024
    .name:           _ZL24rocblas_symm_hemm_kernelILb1ELb1ELi32E19rocblas_complex_numIfEPKS1_PS1_EvbiiT2_T3_lllS6_lllT4_llli
    .private_segment_fixed_size: 0
    .sgpr_count:     46
    .sgpr_spill_count: 0
    .symbol:         _ZL24rocblas_symm_hemm_kernelILb1ELb1ELi32E19rocblas_complex_numIfEPKS1_PS1_EvbiiT2_T3_lllS6_lllT4_llli.kd
    .uniform_work_group_size: 1
    .uses_dynamic_stack: false
    .vgpr_count:     48
    .vgpr_spill_count: 0
    .wavefront_size: 64
  - .agpr_count:     0
    .args:
      - .offset:         0
        .size:           1
        .value_kind:     by_value
      - .offset:         4
        .size:           4
        .value_kind:     by_value
      - .offset:         8
        .size:           4
        .value_kind:     by_value
      - .address_space:  global
        .offset:         16
        .size:           8
        .value_kind:     global_buffer
      - .address_space:  global
        .offset:         24
        .size:           8
        .value_kind:     global_buffer
      - .offset:         32
        .size:           8
        .value_kind:     by_value
      - .offset:         40
        .size:           8
        .value_kind:     by_value
      - .offset:         48
        .size:           8
        .value_kind:     by_value
      - .address_space:  global
        .offset:         56
        .size:           8
        .value_kind:     global_buffer
      - .offset:         64
        .size:           8
        .value_kind:     by_value
      - .offset:         72
        .size:           8
        .value_kind:     by_value
      - .offset:         80
        .size:           8
        .value_kind:     by_value
      - .address_space:  global
        .offset:         88
        .size:           8
        .value_kind:     global_buffer
      - .offset:         96
        .size:           8
        .value_kind:     by_value
      - .offset:         104
        .size:           8
        .value_kind:     by_value
      - .offset:         112
        .size:           8
        .value_kind:     by_value
      - .offset:         120
        .size:           4
        .value_kind:     by_value
      - .offset:         128
        .size:           4
        .value_kind:     hidden_block_count_x
      - .offset:         132
        .size:           4
        .value_kind:     hidden_block_count_y
      - .offset:         136
        .size:           4
        .value_kind:     hidden_block_count_z
      - .offset:         140
        .size:           2
        .value_kind:     hidden_group_size_x
      - .offset:         142
        .size:           2
        .value_kind:     hidden_group_size_y
      - .offset:         144
        .size:           2
        .value_kind:     hidden_group_size_z
      - .offset:         146
        .size:           2
        .value_kind:     hidden_remainder_x
      - .offset:         148
        .size:           2
        .value_kind:     hidden_remainder_y
      - .offset:         150
        .size:           2
        .value_kind:     hidden_remainder_z
      - .offset:         168
        .size:           8
        .value_kind:     hidden_global_offset_x
      - .offset:         176
        .size:           8
        .value_kind:     hidden_global_offset_y
      - .offset:         184
        .size:           8
        .value_kind:     hidden_global_offset_z
      - .offset:         192
        .size:           2
        .value_kind:     hidden_grid_dims
    .group_segment_fixed_size: 32768
    .kernarg_segment_align: 8
    .kernarg_segment_size: 384
    .language:       OpenCL C
    .language_version:
      - 2
      - 0
    .max_flat_workgroup_size: 1024
    .name:           _ZL24rocblas_symm_hemm_kernelILb1ELb0ELi32EPK19rocblas_complex_numIdES3_PS1_EvbiiT2_T3_lllS6_lllT4_llli
    .private_segment_fixed_size: 0
    .sgpr_count:     50
    .sgpr_spill_count: 0
    .symbol:         _ZL24rocblas_symm_hemm_kernelILb1ELb0ELi32EPK19rocblas_complex_numIdES3_PS1_EvbiiT2_T3_lllS6_lllT4_llli.kd
    .uniform_work_group_size: 1
    .uses_dynamic_stack: false
    .vgpr_count:     46
    .vgpr_spill_count: 0
    .wavefront_size: 64
  - .agpr_count:     0
    .args:
      - .offset:         0
        .size:           1
        .value_kind:     by_value
      - .offset:         4
        .size:           4
        .value_kind:     by_value
      - .offset:         8
        .size:           4
        .value_kind:     by_value
      - .address_space:  global
        .offset:         16
        .size:           8
        .value_kind:     global_buffer
      - .address_space:  global
        .offset:         24
        .size:           8
        .value_kind:     global_buffer
      - .offset:         32
        .size:           8
        .value_kind:     by_value
      - .offset:         40
        .size:           8
        .value_kind:     by_value
      - .offset:         48
        .size:           8
        .value_kind:     by_value
      - .address_space:  global
        .offset:         56
        .size:           8
        .value_kind:     global_buffer
      - .offset:         64
        .size:           8
        .value_kind:     by_value
      - .offset:         72
        .size:           8
        .value_kind:     by_value
      - .offset:         80
        .size:           8
        .value_kind:     by_value
      - .address_space:  global
        .offset:         88
        .size:           8
        .value_kind:     global_buffer
      - .offset:         96
        .size:           8
        .value_kind:     by_value
      - .offset:         104
        .size:           8
        .value_kind:     by_value
      - .offset:         112
        .size:           8
        .value_kind:     by_value
      - .offset:         120
        .size:           4
        .value_kind:     by_value
      - .offset:         128
        .size:           4
        .value_kind:     hidden_block_count_x
      - .offset:         132
        .size:           4
        .value_kind:     hidden_block_count_y
      - .offset:         136
        .size:           4
        .value_kind:     hidden_block_count_z
      - .offset:         140
        .size:           2
        .value_kind:     hidden_group_size_x
      - .offset:         142
        .size:           2
        .value_kind:     hidden_group_size_y
      - .offset:         144
        .size:           2
        .value_kind:     hidden_group_size_z
      - .offset:         146
        .size:           2
        .value_kind:     hidden_remainder_x
      - .offset:         148
        .size:           2
        .value_kind:     hidden_remainder_y
      - .offset:         150
        .size:           2
        .value_kind:     hidden_remainder_z
      - .offset:         168
        .size:           8
        .value_kind:     hidden_global_offset_x
      - .offset:         176
        .size:           8
        .value_kind:     hidden_global_offset_y
      - .offset:         184
        .size:           8
        .value_kind:     hidden_global_offset_z
      - .offset:         192
        .size:           2
        .value_kind:     hidden_grid_dims
    .group_segment_fixed_size: 32768
    .kernarg_segment_align: 8
    .kernarg_segment_size: 384
    .language:       OpenCL C
    .language_version:
      - 2
      - 0
    .max_flat_workgroup_size: 1024
    .name:           _ZL24rocblas_symm_hemm_kernelILb1ELb1ELi32EPK19rocblas_complex_numIdES3_PS1_EvbiiT2_T3_lllS6_lllT4_llli
    .private_segment_fixed_size: 0
    .sgpr_count:     50
    .sgpr_spill_count: 0
    .symbol:         _ZL24rocblas_symm_hemm_kernelILb1ELb1ELi32EPK19rocblas_complex_numIdES3_PS1_EvbiiT2_T3_lllS6_lllT4_llli.kd
    .uniform_work_group_size: 1
    .uses_dynamic_stack: false
    .vgpr_count:     48
    .vgpr_spill_count: 0
    .wavefront_size: 64
  - .agpr_count:     0
    .args:
      - .offset:         0
        .size:           1
        .value_kind:     by_value
      - .offset:         4
        .size:           4
        .value_kind:     by_value
      - .offset:         8
        .size:           4
        .value_kind:     by_value
      - .offset:         16
        .size:           16
        .value_kind:     by_value
      - .address_space:  global
        .offset:         32
        .size:           8
        .value_kind:     global_buffer
      - .offset:         40
        .size:           8
        .value_kind:     by_value
      - .offset:         48
        .size:           8
        .value_kind:     by_value
      - .offset:         56
        .size:           8
        .value_kind:     by_value
      - .address_space:  global
        .offset:         64
        .size:           8
        .value_kind:     global_buffer
      - .offset:         72
        .size:           8
        .value_kind:     by_value
      - .offset:         80
        .size:           8
        .value_kind:     by_value
      - .offset:         88
        .size:           8
        .value_kind:     by_value
      - .address_space:  global
        .offset:         96
        .size:           8
        .value_kind:     global_buffer
      - .offset:         104
        .size:           8
        .value_kind:     by_value
      - .offset:         112
        .size:           8
        .value_kind:     by_value
      - .offset:         120
        .size:           8
        .value_kind:     by_value
      - .offset:         128
        .size:           4
        .value_kind:     by_value
      - .offset:         136
        .size:           4
        .value_kind:     hidden_block_count_x
      - .offset:         140
        .size:           4
        .value_kind:     hidden_block_count_y
      - .offset:         144
        .size:           4
        .value_kind:     hidden_block_count_z
      - .offset:         148
        .size:           2
        .value_kind:     hidden_group_size_x
      - .offset:         150
        .size:           2
        .value_kind:     hidden_group_size_y
      - .offset:         152
        .size:           2
        .value_kind:     hidden_group_size_z
      - .offset:         154
        .size:           2
        .value_kind:     hidden_remainder_x
      - .offset:         156
        .size:           2
        .value_kind:     hidden_remainder_y
      - .offset:         158
        .size:           2
        .value_kind:     hidden_remainder_z
      - .offset:         176
        .size:           8
        .value_kind:     hidden_global_offset_x
      - .offset:         184
        .size:           8
        .value_kind:     hidden_global_offset_y
      - .offset:         192
        .size:           8
        .value_kind:     hidden_global_offset_z
      - .offset:         200
        .size:           2
        .value_kind:     hidden_grid_dims
    .group_segment_fixed_size: 32768
    .kernarg_segment_align: 8
    .kernarg_segment_size: 392
    .language:       OpenCL C
    .language_version:
      - 2
      - 0
    .max_flat_workgroup_size: 1024
    .name:           _ZL24rocblas_symm_hemm_kernelILb1ELb0ELi32E19rocblas_complex_numIdEPKS1_PS1_EvbiiT2_T3_lllS6_lllT4_llli
    .private_segment_fixed_size: 0
    .sgpr_count:     54
    .sgpr_spill_count: 0
    .symbol:         _ZL24rocblas_symm_hemm_kernelILb1ELb0ELi32E19rocblas_complex_numIdEPKS1_PS1_EvbiiT2_T3_lllS6_lllT4_llli.kd
    .uniform_work_group_size: 1
    .uses_dynamic_stack: false
    .vgpr_count:     46
    .vgpr_spill_count: 0
    .wavefront_size: 64
  - .agpr_count:     0
    .args:
      - .offset:         0
        .size:           1
        .value_kind:     by_value
      - .offset:         4
        .size:           4
        .value_kind:     by_value
      - .offset:         8
        .size:           4
        .value_kind:     by_value
      - .offset:         16
        .size:           16
        .value_kind:     by_value
      - .address_space:  global
        .offset:         32
        .size:           8
        .value_kind:     global_buffer
      - .offset:         40
        .size:           8
        .value_kind:     by_value
      - .offset:         48
        .size:           8
        .value_kind:     by_value
      - .offset:         56
        .size:           8
        .value_kind:     by_value
      - .address_space:  global
        .offset:         64
        .size:           8
        .value_kind:     global_buffer
      - .offset:         72
        .size:           8
        .value_kind:     by_value
      - .offset:         80
        .size:           8
        .value_kind:     by_value
      - .offset:         88
        .size:           8
        .value_kind:     by_value
      - .address_space:  global
        .offset:         96
        .size:           8
        .value_kind:     global_buffer
      - .offset:         104
        .size:           8
        .value_kind:     by_value
      - .offset:         112
        .size:           8
        .value_kind:     by_value
      - .offset:         120
        .size:           8
        .value_kind:     by_value
      - .offset:         128
        .size:           4
        .value_kind:     by_value
      - .offset:         136
        .size:           4
        .value_kind:     hidden_block_count_x
      - .offset:         140
        .size:           4
        .value_kind:     hidden_block_count_y
      - .offset:         144
        .size:           4
        .value_kind:     hidden_block_count_z
      - .offset:         148
        .size:           2
        .value_kind:     hidden_group_size_x
      - .offset:         150
        .size:           2
        .value_kind:     hidden_group_size_y
      - .offset:         152
        .size:           2
        .value_kind:     hidden_group_size_z
      - .offset:         154
        .size:           2
        .value_kind:     hidden_remainder_x
      - .offset:         156
        .size:           2
        .value_kind:     hidden_remainder_y
      - .offset:         158
        .size:           2
        .value_kind:     hidden_remainder_z
      - .offset:         176
        .size:           8
        .value_kind:     hidden_global_offset_x
      - .offset:         184
        .size:           8
        .value_kind:     hidden_global_offset_y
      - .offset:         192
        .size:           8
        .value_kind:     hidden_global_offset_z
      - .offset:         200
        .size:           2
        .value_kind:     hidden_grid_dims
    .group_segment_fixed_size: 32768
    .kernarg_segment_align: 8
    .kernarg_segment_size: 392
    .language:       OpenCL C
    .language_version:
      - 2
      - 0
    .max_flat_workgroup_size: 1024
    .name:           _ZL24rocblas_symm_hemm_kernelILb1ELb1ELi32E19rocblas_complex_numIdEPKS1_PS1_EvbiiT2_T3_lllS6_lllT4_llli
    .private_segment_fixed_size: 0
    .sgpr_count:     50
    .sgpr_spill_count: 0
    .symbol:         _ZL24rocblas_symm_hemm_kernelILb1ELb1ELi32E19rocblas_complex_numIdEPKS1_PS1_EvbiiT2_T3_lllS6_lllT4_llli.kd
    .uniform_work_group_size: 1
    .uses_dynamic_stack: false
    .vgpr_count:     48
    .vgpr_spill_count: 0
    .wavefront_size: 64
  - .agpr_count:     0
    .args:
      - .offset:         0
        .size:           4
        .value_kind:     by_value
      - .offset:         4
        .size:           4
        .value_kind:     by_value
      - .address_space:  global
        .offset:         8
        .size:           8
        .value_kind:     global_buffer
      - .address_space:  global
        .offset:         16
        .size:           8
        .value_kind:     global_buffer
      - .offset:         24
        .size:           8
        .value_kind:     by_value
      - .offset:         32
        .size:           8
        .value_kind:     by_value
      - .offset:         40
        .size:           8
        .value_kind:     by_value
      - .offset:         48
        .size:           4
        .value_kind:     by_value
      - .offset:         56
        .size:           4
        .value_kind:     hidden_block_count_x
      - .offset:         60
        .size:           4
        .value_kind:     hidden_block_count_y
      - .offset:         64
        .size:           4
        .value_kind:     hidden_block_count_z
      - .offset:         68
        .size:           2
        .value_kind:     hidden_group_size_x
      - .offset:         70
        .size:           2
        .value_kind:     hidden_group_size_y
      - .offset:         72
        .size:           2
        .value_kind:     hidden_group_size_z
      - .offset:         74
        .size:           2
        .value_kind:     hidden_remainder_x
      - .offset:         76
        .size:           2
        .value_kind:     hidden_remainder_y
      - .offset:         78
        .size:           2
        .value_kind:     hidden_remainder_z
      - .offset:         96
        .size:           8
        .value_kind:     hidden_global_offset_x
      - .offset:         104
        .size:           8
        .value_kind:     hidden_global_offset_y
      - .offset:         112
        .size:           8
        .value_kind:     hidden_global_offset_z
      - .offset:         120
        .size:           2
        .value_kind:     hidden_grid_dims
    .group_segment_fixed_size: 0
    .kernarg_segment_align: 8
    .kernarg_segment_size: 312
    .language:       OpenCL C
    .language_version:
      - 2
      - 0
    .max_flat_workgroup_size: 1024
    .name:           _ZL25rocblas_symm_scale_kernelILi128ELi8EPKfPKPfEviiT1_T2_llli
    .private_segment_fixed_size: 0
    .sgpr_count:     23
    .sgpr_spill_count: 0
    .symbol:         _ZL25rocblas_symm_scale_kernelILi128ELi8EPKfPKPfEviiT1_T2_llli.kd
    .uniform_work_group_size: 1
    .uses_dynamic_stack: false
    .vgpr_count:     8
    .vgpr_spill_count: 0
    .wavefront_size: 64
  - .agpr_count:     0
    .args:
      - .offset:         0
        .size:           1
        .value_kind:     by_value
      - .offset:         4
        .size:           4
        .value_kind:     by_value
      - .offset:         8
        .size:           4
        .value_kind:     by_value
      - .address_space:  global
        .offset:         16
        .size:           8
        .value_kind:     global_buffer
      - .address_space:  global
        .offset:         24
        .size:           8
        .value_kind:     global_buffer
      - .offset:         32
        .size:           8
        .value_kind:     by_value
      - .offset:         40
        .size:           8
        .value_kind:     by_value
      - .offset:         48
        .size:           8
        .value_kind:     by_value
      - .address_space:  global
        .offset:         56
        .size:           8
        .value_kind:     global_buffer
      - .offset:         64
        .size:           8
        .value_kind:     by_value
      - .offset:         72
        .size:           8
        .value_kind:     by_value
      - .offset:         80
        .size:           8
        .value_kind:     by_value
      - .address_space:  global
        .offset:         88
        .size:           8
        .value_kind:     global_buffer
      - .offset:         96
        .size:           8
        .value_kind:     by_value
      - .offset:         104
        .size:           8
        .value_kind:     by_value
      - .offset:         112
        .size:           8
        .value_kind:     by_value
      - .offset:         120
        .size:           4
        .value_kind:     by_value
      - .offset:         128
        .size:           4
        .value_kind:     hidden_block_count_x
      - .offset:         132
        .size:           4
        .value_kind:     hidden_block_count_y
      - .offset:         136
        .size:           4
        .value_kind:     hidden_block_count_z
      - .offset:         140
        .size:           2
        .value_kind:     hidden_group_size_x
      - .offset:         142
        .size:           2
        .value_kind:     hidden_group_size_y
      - .offset:         144
        .size:           2
        .value_kind:     hidden_group_size_z
      - .offset:         146
        .size:           2
        .value_kind:     hidden_remainder_x
      - .offset:         148
        .size:           2
        .value_kind:     hidden_remainder_y
      - .offset:         150
        .size:           2
        .value_kind:     hidden_remainder_z
      - .offset:         168
        .size:           8
        .value_kind:     hidden_global_offset_x
      - .offset:         176
        .size:           8
        .value_kind:     hidden_global_offset_y
      - .offset:         184
        .size:           8
        .value_kind:     hidden_global_offset_z
      - .offset:         192
        .size:           2
        .value_kind:     hidden_grid_dims
    .group_segment_fixed_size: 8192
    .kernarg_segment_align: 8
    .kernarg_segment_size: 384
    .language:       OpenCL C
    .language_version:
      - 2
      - 0
    .max_flat_workgroup_size: 1024
    .name:           _ZL24rocblas_symm_hemm_kernelILb0ELb0ELi32EPKfPKS1_PKPfEvbiiT2_T3_lllS8_lllT4_llli
    .private_segment_fixed_size: 0
    .sgpr_count:     35
    .sgpr_spill_count: 0
    .symbol:         _ZL24rocblas_symm_hemm_kernelILb0ELb0ELi32EPKfPKS1_PKPfEvbiiT2_T3_lllS8_lllT4_llli.kd
    .uniform_work_group_size: 1
    .uses_dynamic_stack: false
    .vgpr_count:     40
    .vgpr_spill_count: 0
    .wavefront_size: 64
  - .agpr_count:     0
    .args:
      - .offset:         0
        .size:           1
        .value_kind:     by_value
      - .offset:         4
        .size:           4
        .value_kind:     by_value
      - .offset:         8
        .size:           4
        .value_kind:     by_value
      - .address_space:  global
        .offset:         16
        .size:           8
        .value_kind:     global_buffer
      - .address_space:  global
        .offset:         24
        .size:           8
        .value_kind:     global_buffer
      - .offset:         32
        .size:           8
        .value_kind:     by_value
      - .offset:         40
        .size:           8
        .value_kind:     by_value
      - .offset:         48
        .size:           8
        .value_kind:     by_value
      - .address_space:  global
        .offset:         56
        .size:           8
        .value_kind:     global_buffer
      - .offset:         64
        .size:           8
        .value_kind:     by_value
      - .offset:         72
        .size:           8
        .value_kind:     by_value
      - .offset:         80
        .size:           8
        .value_kind:     by_value
      - .address_space:  global
        .offset:         88
        .size:           8
        .value_kind:     global_buffer
      - .offset:         96
        .size:           8
        .value_kind:     by_value
      - .offset:         104
        .size:           8
        .value_kind:     by_value
      - .offset:         112
        .size:           8
        .value_kind:     by_value
      - .offset:         120
        .size:           4
        .value_kind:     by_value
      - .offset:         128
        .size:           4
        .value_kind:     hidden_block_count_x
      - .offset:         132
        .size:           4
        .value_kind:     hidden_block_count_y
      - .offset:         136
        .size:           4
        .value_kind:     hidden_block_count_z
      - .offset:         140
        .size:           2
        .value_kind:     hidden_group_size_x
      - .offset:         142
        .size:           2
        .value_kind:     hidden_group_size_y
      - .offset:         144
        .size:           2
        .value_kind:     hidden_group_size_z
      - .offset:         146
        .size:           2
        .value_kind:     hidden_remainder_x
      - .offset:         148
        .size:           2
        .value_kind:     hidden_remainder_y
      - .offset:         150
        .size:           2
        .value_kind:     hidden_remainder_z
      - .offset:         168
        .size:           8
        .value_kind:     hidden_global_offset_x
      - .offset:         176
        .size:           8
        .value_kind:     hidden_global_offset_y
      - .offset:         184
        .size:           8
        .value_kind:     hidden_global_offset_z
      - .offset:         192
        .size:           2
        .value_kind:     hidden_grid_dims
    .group_segment_fixed_size: 8192
    .kernarg_segment_align: 8
    .kernarg_segment_size: 384
    .language:       OpenCL C
    .language_version:
      - 2
      - 0
    .max_flat_workgroup_size: 1024
    .name:           _ZL24rocblas_symm_hemm_kernelILb0ELb1ELi32EPKfPKS1_PKPfEvbiiT2_T3_lllS8_lllT4_llli
    .private_segment_fixed_size: 0
    .sgpr_count:     38
    .sgpr_spill_count: 0
    .symbol:         _ZL24rocblas_symm_hemm_kernelILb0ELb1ELi32EPKfPKS1_PKPfEvbiiT2_T3_lllS8_lllT4_llli.kd
    .uniform_work_group_size: 1
    .uses_dynamic_stack: false
    .vgpr_count:     40
    .vgpr_spill_count: 0
    .wavefront_size: 64
  - .agpr_count:     0
    .args:
      - .offset:         0
        .size:           4
        .value_kind:     by_value
      - .offset:         4
        .size:           4
        .value_kind:     by_value
      - .offset:         8
        .size:           4
        .value_kind:     by_value
      - .address_space:  global
        .offset:         16
        .size:           8
        .value_kind:     global_buffer
      - .offset:         24
        .size:           8
        .value_kind:     by_value
      - .offset:         32
        .size:           8
        .value_kind:     by_value
      - .offset:         40
        .size:           8
        .value_kind:     by_value
      - .offset:         48
        .size:           4
        .value_kind:     by_value
      - .offset:         56
        .size:           4
        .value_kind:     hidden_block_count_x
      - .offset:         60
        .size:           4
        .value_kind:     hidden_block_count_y
      - .offset:         64
        .size:           4
        .value_kind:     hidden_block_count_z
      - .offset:         68
        .size:           2
        .value_kind:     hidden_group_size_x
      - .offset:         70
        .size:           2
        .value_kind:     hidden_group_size_y
      - .offset:         72
        .size:           2
        .value_kind:     hidden_group_size_z
      - .offset:         74
        .size:           2
        .value_kind:     hidden_remainder_x
      - .offset:         76
        .size:           2
        .value_kind:     hidden_remainder_y
      - .offset:         78
        .size:           2
        .value_kind:     hidden_remainder_z
      - .offset:         96
        .size:           8
        .value_kind:     hidden_global_offset_x
      - .offset:         104
        .size:           8
        .value_kind:     hidden_global_offset_y
      - .offset:         112
        .size:           8
        .value_kind:     hidden_global_offset_z
      - .offset:         120
        .size:           2
        .value_kind:     hidden_grid_dims
    .group_segment_fixed_size: 0
    .kernarg_segment_align: 8
    .kernarg_segment_size: 312
    .language:       OpenCL C
    .language_version:
      - 2
      - 0
    .max_flat_workgroup_size: 1024
    .name:           _ZL25rocblas_symm_scale_kernelILi128ELi8EfPKPfEviiT1_T2_llli
    .private_segment_fixed_size: 0
    .sgpr_count:     22
    .sgpr_spill_count: 0
    .symbol:         _ZL25rocblas_symm_scale_kernelILi128ELi8EfPKPfEviiT1_T2_llli.kd
    .uniform_work_group_size: 1
    .uses_dynamic_stack: false
    .vgpr_count:     8
    .vgpr_spill_count: 0
    .wavefront_size: 64
  - .agpr_count:     0
    .args:
      - .offset:         0
        .size:           1
        .value_kind:     by_value
      - .offset:         4
        .size:           4
        .value_kind:     by_value
      - .offset:         8
        .size:           4
        .value_kind:     by_value
      - .offset:         12
        .size:           4
        .value_kind:     by_value
      - .address_space:  global
        .offset:         16
        .size:           8
        .value_kind:     global_buffer
      - .offset:         24
        .size:           8
        .value_kind:     by_value
      - .offset:         32
        .size:           8
        .value_kind:     by_value
      - .offset:         40
        .size:           8
        .value_kind:     by_value
      - .address_space:  global
        .offset:         48
        .size:           8
        .value_kind:     global_buffer
      - .offset:         56
        .size:           8
        .value_kind:     by_value
      - .offset:         64
        .size:           8
        .value_kind:     by_value
      - .offset:         72
        .size:           8
        .value_kind:     by_value
      - .address_space:  global
        .offset:         80
        .size:           8
        .value_kind:     global_buffer
      - .offset:         88
        .size:           8
        .value_kind:     by_value
      - .offset:         96
        .size:           8
        .value_kind:     by_value
      - .offset:         104
        .size:           8
        .value_kind:     by_value
      - .offset:         112
        .size:           4
        .value_kind:     by_value
      - .offset:         120
        .size:           4
        .value_kind:     hidden_block_count_x
      - .offset:         124
        .size:           4
        .value_kind:     hidden_block_count_y
      - .offset:         128
        .size:           4
        .value_kind:     hidden_block_count_z
      - .offset:         132
        .size:           2
        .value_kind:     hidden_group_size_x
      - .offset:         134
        .size:           2
        .value_kind:     hidden_group_size_y
      - .offset:         136
        .size:           2
        .value_kind:     hidden_group_size_z
      - .offset:         138
        .size:           2
        .value_kind:     hidden_remainder_x
      - .offset:         140
        .size:           2
        .value_kind:     hidden_remainder_y
      - .offset:         142
        .size:           2
        .value_kind:     hidden_remainder_z
      - .offset:         160
        .size:           8
        .value_kind:     hidden_global_offset_x
      - .offset:         168
        .size:           8
        .value_kind:     hidden_global_offset_y
      - .offset:         176
        .size:           8
        .value_kind:     hidden_global_offset_z
      - .offset:         184
        .size:           2
        .value_kind:     hidden_grid_dims
    .group_segment_fixed_size: 8192
    .kernarg_segment_align: 8
    .kernarg_segment_size: 376
    .language:       OpenCL C
    .language_version:
      - 2
      - 0
    .max_flat_workgroup_size: 1024
    .name:           _ZL24rocblas_symm_hemm_kernelILb0ELb0ELi32EfPKPKfPKPfEvbiiT2_T3_lllS8_lllT4_llli
    .private_segment_fixed_size: 0
    .sgpr_count:     38
    .sgpr_spill_count: 0
    .symbol:         _ZL24rocblas_symm_hemm_kernelILb0ELb0ELi32EfPKPKfPKPfEvbiiT2_T3_lllS8_lllT4_llli.kd
    .uniform_work_group_size: 1
    .uses_dynamic_stack: false
    .vgpr_count:     40
    .vgpr_spill_count: 0
    .wavefront_size: 64
  - .agpr_count:     0
    .args:
      - .offset:         0
        .size:           1
        .value_kind:     by_value
      - .offset:         4
        .size:           4
        .value_kind:     by_value
      - .offset:         8
        .size:           4
        .value_kind:     by_value
      - .offset:         12
        .size:           4
        .value_kind:     by_value
      - .address_space:  global
        .offset:         16
        .size:           8
        .value_kind:     global_buffer
      - .offset:         24
        .size:           8
        .value_kind:     by_value
      - .offset:         32
        .size:           8
        .value_kind:     by_value
      - .offset:         40
        .size:           8
        .value_kind:     by_value
      - .address_space:  global
        .offset:         48
        .size:           8
        .value_kind:     global_buffer
      - .offset:         56
        .size:           8
        .value_kind:     by_value
      - .offset:         64
        .size:           8
        .value_kind:     by_value
      - .offset:         72
        .size:           8
        .value_kind:     by_value
      - .address_space:  global
        .offset:         80
        .size:           8
        .value_kind:     global_buffer
      - .offset:         88
        .size:           8
        .value_kind:     by_value
      - .offset:         96
        .size:           8
        .value_kind:     by_value
      - .offset:         104
        .size:           8
        .value_kind:     by_value
      - .offset:         112
        .size:           4
        .value_kind:     by_value
      - .offset:         120
        .size:           4
        .value_kind:     hidden_block_count_x
      - .offset:         124
        .size:           4
        .value_kind:     hidden_block_count_y
      - .offset:         128
        .size:           4
        .value_kind:     hidden_block_count_z
      - .offset:         132
        .size:           2
        .value_kind:     hidden_group_size_x
      - .offset:         134
        .size:           2
        .value_kind:     hidden_group_size_y
      - .offset:         136
        .size:           2
        .value_kind:     hidden_group_size_z
      - .offset:         138
        .size:           2
        .value_kind:     hidden_remainder_x
      - .offset:         140
        .size:           2
        .value_kind:     hidden_remainder_y
      - .offset:         142
        .size:           2
        .value_kind:     hidden_remainder_z
      - .offset:         160
        .size:           8
        .value_kind:     hidden_global_offset_x
      - .offset:         168
        .size:           8
        .value_kind:     hidden_global_offset_y
      - .offset:         176
        .size:           8
        .value_kind:     hidden_global_offset_z
      - .offset:         184
        .size:           2
        .value_kind:     hidden_grid_dims
    .group_segment_fixed_size: 8192
    .kernarg_segment_align: 8
    .kernarg_segment_size: 376
    .language:       OpenCL C
    .language_version:
      - 2
      - 0
    .max_flat_workgroup_size: 1024
    .name:           _ZL24rocblas_symm_hemm_kernelILb0ELb1ELi32EfPKPKfPKPfEvbiiT2_T3_lllS8_lllT4_llli
    .private_segment_fixed_size: 0
    .sgpr_count:     38
    .sgpr_spill_count: 0
    .symbol:         _ZL24rocblas_symm_hemm_kernelILb0ELb1ELi32EfPKPKfPKPfEvbiiT2_T3_lllS8_lllT4_llli.kd
    .uniform_work_group_size: 1
    .uses_dynamic_stack: false
    .vgpr_count:     40
    .vgpr_spill_count: 0
    .wavefront_size: 64
  - .agpr_count:     0
    .args:
      - .offset:         0
        .size:           4
        .value_kind:     by_value
      - .offset:         4
        .size:           4
        .value_kind:     by_value
      - .address_space:  global
        .offset:         8
        .size:           8
        .value_kind:     global_buffer
      - .address_space:  global
        .offset:         16
        .size:           8
        .value_kind:     global_buffer
      - .offset:         24
        .size:           8
        .value_kind:     by_value
      - .offset:         32
        .size:           8
        .value_kind:     by_value
      - .offset:         40
        .size:           8
        .value_kind:     by_value
      - .offset:         48
        .size:           4
        .value_kind:     by_value
      - .offset:         56
        .size:           4
        .value_kind:     hidden_block_count_x
      - .offset:         60
        .size:           4
        .value_kind:     hidden_block_count_y
      - .offset:         64
        .size:           4
        .value_kind:     hidden_block_count_z
      - .offset:         68
        .size:           2
        .value_kind:     hidden_group_size_x
      - .offset:         70
        .size:           2
        .value_kind:     hidden_group_size_y
      - .offset:         72
        .size:           2
        .value_kind:     hidden_group_size_z
      - .offset:         74
        .size:           2
        .value_kind:     hidden_remainder_x
      - .offset:         76
        .size:           2
        .value_kind:     hidden_remainder_y
      - .offset:         78
        .size:           2
        .value_kind:     hidden_remainder_z
      - .offset:         96
        .size:           8
        .value_kind:     hidden_global_offset_x
      - .offset:         104
        .size:           8
        .value_kind:     hidden_global_offset_y
      - .offset:         112
        .size:           8
        .value_kind:     hidden_global_offset_z
      - .offset:         120
        .size:           2
        .value_kind:     hidden_grid_dims
    .group_segment_fixed_size: 0
    .kernarg_segment_align: 8
    .kernarg_segment_size: 312
    .language:       OpenCL C
    .language_version:
      - 2
      - 0
    .max_flat_workgroup_size: 1024
    .name:           _ZL25rocblas_symm_scale_kernelILi128ELi8EPKdPKPdEviiT1_T2_llli
    .private_segment_fixed_size: 0
    .sgpr_count:     24
    .sgpr_spill_count: 0
    .symbol:         _ZL25rocblas_symm_scale_kernelILi128ELi8EPKdPKPdEviiT1_T2_llli.kd
    .uniform_work_group_size: 1
    .uses_dynamic_stack: false
    .vgpr_count:     8
    .vgpr_spill_count: 0
    .wavefront_size: 64
  - .agpr_count:     0
    .args:
      - .offset:         0
        .size:           1
        .value_kind:     by_value
      - .offset:         4
        .size:           4
        .value_kind:     by_value
      - .offset:         8
        .size:           4
        .value_kind:     by_value
      - .address_space:  global
        .offset:         16
        .size:           8
        .value_kind:     global_buffer
      - .address_space:  global
        .offset:         24
        .size:           8
        .value_kind:     global_buffer
      - .offset:         32
        .size:           8
        .value_kind:     by_value
      - .offset:         40
        .size:           8
        .value_kind:     by_value
      - .offset:         48
        .size:           8
        .value_kind:     by_value
      - .address_space:  global
        .offset:         56
        .size:           8
        .value_kind:     global_buffer
      - .offset:         64
        .size:           8
        .value_kind:     by_value
      - .offset:         72
        .size:           8
        .value_kind:     by_value
      - .offset:         80
        .size:           8
        .value_kind:     by_value
      - .address_space:  global
        .offset:         88
        .size:           8
        .value_kind:     global_buffer
      - .offset:         96
        .size:           8
        .value_kind:     by_value
      - .offset:         104
        .size:           8
        .value_kind:     by_value
      - .offset:         112
        .size:           8
        .value_kind:     by_value
      - .offset:         120
        .size:           4
        .value_kind:     by_value
      - .offset:         128
        .size:           4
        .value_kind:     hidden_block_count_x
      - .offset:         132
        .size:           4
        .value_kind:     hidden_block_count_y
      - .offset:         136
        .size:           4
        .value_kind:     hidden_block_count_z
      - .offset:         140
        .size:           2
        .value_kind:     hidden_group_size_x
      - .offset:         142
        .size:           2
        .value_kind:     hidden_group_size_y
      - .offset:         144
        .size:           2
        .value_kind:     hidden_group_size_z
      - .offset:         146
        .size:           2
        .value_kind:     hidden_remainder_x
      - .offset:         148
        .size:           2
        .value_kind:     hidden_remainder_y
      - .offset:         150
        .size:           2
        .value_kind:     hidden_remainder_z
      - .offset:         168
        .size:           8
        .value_kind:     hidden_global_offset_x
      - .offset:         176
        .size:           8
        .value_kind:     hidden_global_offset_y
      - .offset:         184
        .size:           8
        .value_kind:     hidden_global_offset_z
      - .offset:         192
        .size:           2
        .value_kind:     hidden_grid_dims
    .group_segment_fixed_size: 16384
    .kernarg_segment_align: 8
    .kernarg_segment_size: 384
    .language:       OpenCL C
    .language_version:
      - 2
      - 0
    .max_flat_workgroup_size: 1024
    .name:           _ZL24rocblas_symm_hemm_kernelILb0ELb0ELi32EPKdPKS1_PKPdEvbiiT2_T3_lllS8_lllT4_llli
    .private_segment_fixed_size: 0
    .sgpr_count:     38
    .sgpr_spill_count: 0
    .symbol:         _ZL24rocblas_symm_hemm_kernelILb0ELb0ELi32EPKdPKS1_PKPdEvbiiT2_T3_lllS8_lllT4_llli.kd
    .uniform_work_group_size: 1
    .uses_dynamic_stack: false
    .vgpr_count:     48
    .vgpr_spill_count: 0
    .wavefront_size: 64
  - .agpr_count:     0
    .args:
      - .offset:         0
        .size:           1
        .value_kind:     by_value
      - .offset:         4
        .size:           4
        .value_kind:     by_value
      - .offset:         8
        .size:           4
        .value_kind:     by_value
      - .address_space:  global
        .offset:         16
        .size:           8
        .value_kind:     global_buffer
      - .address_space:  global
        .offset:         24
        .size:           8
        .value_kind:     global_buffer
      - .offset:         32
        .size:           8
        .value_kind:     by_value
      - .offset:         40
        .size:           8
        .value_kind:     by_value
      - .offset:         48
        .size:           8
        .value_kind:     by_value
      - .address_space:  global
        .offset:         56
        .size:           8
        .value_kind:     global_buffer
      - .offset:         64
        .size:           8
        .value_kind:     by_value
      - .offset:         72
        .size:           8
        .value_kind:     by_value
      - .offset:         80
        .size:           8
        .value_kind:     by_value
      - .address_space:  global
        .offset:         88
        .size:           8
        .value_kind:     global_buffer
      - .offset:         96
        .size:           8
        .value_kind:     by_value
      - .offset:         104
        .size:           8
        .value_kind:     by_value
      - .offset:         112
        .size:           8
        .value_kind:     by_value
      - .offset:         120
        .size:           4
        .value_kind:     by_value
      - .offset:         128
        .size:           4
        .value_kind:     hidden_block_count_x
      - .offset:         132
        .size:           4
        .value_kind:     hidden_block_count_y
      - .offset:         136
        .size:           4
        .value_kind:     hidden_block_count_z
      - .offset:         140
        .size:           2
        .value_kind:     hidden_group_size_x
      - .offset:         142
        .size:           2
        .value_kind:     hidden_group_size_y
      - .offset:         144
        .size:           2
        .value_kind:     hidden_group_size_z
      - .offset:         146
        .size:           2
        .value_kind:     hidden_remainder_x
      - .offset:         148
        .size:           2
        .value_kind:     hidden_remainder_y
      - .offset:         150
        .size:           2
        .value_kind:     hidden_remainder_z
      - .offset:         168
        .size:           8
        .value_kind:     hidden_global_offset_x
      - .offset:         176
        .size:           8
        .value_kind:     hidden_global_offset_y
      - .offset:         184
        .size:           8
        .value_kind:     hidden_global_offset_z
      - .offset:         192
        .size:           2
        .value_kind:     hidden_grid_dims
    .group_segment_fixed_size: 16384
    .kernarg_segment_align: 8
    .kernarg_segment_size: 384
    .language:       OpenCL C
    .language_version:
      - 2
      - 0
    .max_flat_workgroup_size: 1024
    .name:           _ZL24rocblas_symm_hemm_kernelILb0ELb1ELi32EPKdPKS1_PKPdEvbiiT2_T3_lllS8_lllT4_llli
    .private_segment_fixed_size: 0
    .sgpr_count:     38
    .sgpr_spill_count: 0
    .symbol:         _ZL24rocblas_symm_hemm_kernelILb0ELb1ELi32EPKdPKS1_PKPdEvbiiT2_T3_lllS8_lllT4_llli.kd
    .uniform_work_group_size: 1
    .uses_dynamic_stack: false
    .vgpr_count:     48
    .vgpr_spill_count: 0
    .wavefront_size: 64
  - .agpr_count:     0
    .args:
      - .offset:         0
        .size:           4
        .value_kind:     by_value
      - .offset:         4
        .size:           4
        .value_kind:     by_value
      - .offset:         8
        .size:           8
        .value_kind:     by_value
      - .address_space:  global
        .offset:         16
        .size:           8
        .value_kind:     global_buffer
      - .offset:         24
        .size:           8
        .value_kind:     by_value
      - .offset:         32
        .size:           8
        .value_kind:     by_value
      - .offset:         40
        .size:           8
        .value_kind:     by_value
      - .offset:         48
        .size:           4
        .value_kind:     by_value
      - .offset:         56
        .size:           4
        .value_kind:     hidden_block_count_x
      - .offset:         60
        .size:           4
        .value_kind:     hidden_block_count_y
      - .offset:         64
        .size:           4
        .value_kind:     hidden_block_count_z
      - .offset:         68
        .size:           2
        .value_kind:     hidden_group_size_x
      - .offset:         70
        .size:           2
        .value_kind:     hidden_group_size_y
      - .offset:         72
        .size:           2
        .value_kind:     hidden_group_size_z
      - .offset:         74
        .size:           2
        .value_kind:     hidden_remainder_x
      - .offset:         76
        .size:           2
        .value_kind:     hidden_remainder_y
      - .offset:         78
        .size:           2
        .value_kind:     hidden_remainder_z
      - .offset:         96
        .size:           8
        .value_kind:     hidden_global_offset_x
      - .offset:         104
        .size:           8
        .value_kind:     hidden_global_offset_y
      - .offset:         112
        .size:           8
        .value_kind:     hidden_global_offset_z
      - .offset:         120
        .size:           2
        .value_kind:     hidden_grid_dims
    .group_segment_fixed_size: 0
    .kernarg_segment_align: 8
    .kernarg_segment_size: 312
    .language:       OpenCL C
    .language_version:
      - 2
      - 0
    .max_flat_workgroup_size: 1024
    .name:           _ZL25rocblas_symm_scale_kernelILi128ELi8EdPKPdEviiT1_T2_llli
    .private_segment_fixed_size: 0
    .sgpr_count:     24
    .sgpr_spill_count: 0
    .symbol:         _ZL25rocblas_symm_scale_kernelILi128ELi8EdPKPdEviiT1_T2_llli.kd
    .uniform_work_group_size: 1
    .uses_dynamic_stack: false
    .vgpr_count:     8
    .vgpr_spill_count: 0
    .wavefront_size: 64
  - .agpr_count:     0
    .args:
      - .offset:         0
        .size:           1
        .value_kind:     by_value
      - .offset:         4
        .size:           4
        .value_kind:     by_value
      - .offset:         8
        .size:           4
        .value_kind:     by_value
      - .offset:         16
        .size:           8
        .value_kind:     by_value
      - .address_space:  global
        .offset:         24
        .size:           8
        .value_kind:     global_buffer
      - .offset:         32
        .size:           8
        .value_kind:     by_value
      - .offset:         40
        .size:           8
        .value_kind:     by_value
      - .offset:         48
        .size:           8
        .value_kind:     by_value
      - .address_space:  global
        .offset:         56
        .size:           8
        .value_kind:     global_buffer
      - .offset:         64
        .size:           8
        .value_kind:     by_value
      - .offset:         72
        .size:           8
        .value_kind:     by_value
      - .offset:         80
        .size:           8
        .value_kind:     by_value
      - .address_space:  global
        .offset:         88
        .size:           8
        .value_kind:     global_buffer
      - .offset:         96
        .size:           8
        .value_kind:     by_value
      - .offset:         104
        .size:           8
        .value_kind:     by_value
      - .offset:         112
        .size:           8
        .value_kind:     by_value
      - .offset:         120
        .size:           4
        .value_kind:     by_value
      - .offset:         128
        .size:           4
        .value_kind:     hidden_block_count_x
      - .offset:         132
        .size:           4
        .value_kind:     hidden_block_count_y
      - .offset:         136
        .size:           4
        .value_kind:     hidden_block_count_z
      - .offset:         140
        .size:           2
        .value_kind:     hidden_group_size_x
      - .offset:         142
        .size:           2
        .value_kind:     hidden_group_size_y
      - .offset:         144
        .size:           2
        .value_kind:     hidden_group_size_z
      - .offset:         146
        .size:           2
        .value_kind:     hidden_remainder_x
      - .offset:         148
        .size:           2
        .value_kind:     hidden_remainder_y
      - .offset:         150
        .size:           2
        .value_kind:     hidden_remainder_z
      - .offset:         168
        .size:           8
        .value_kind:     hidden_global_offset_x
      - .offset:         176
        .size:           8
        .value_kind:     hidden_global_offset_y
      - .offset:         184
        .size:           8
        .value_kind:     hidden_global_offset_z
      - .offset:         192
        .size:           2
        .value_kind:     hidden_grid_dims
    .group_segment_fixed_size: 16384
    .kernarg_segment_align: 8
    .kernarg_segment_size: 384
    .language:       OpenCL C
    .language_version:
      - 2
      - 0
    .max_flat_workgroup_size: 1024
    .name:           _ZL24rocblas_symm_hemm_kernelILb0ELb0ELi32EdPKPKdPKPdEvbiiT2_T3_lllS8_lllT4_llli
    .private_segment_fixed_size: 0
    .sgpr_count:     38
    .sgpr_spill_count: 0
    .symbol:         _ZL24rocblas_symm_hemm_kernelILb0ELb0ELi32EdPKPKdPKPdEvbiiT2_T3_lllS8_lllT4_llli.kd
    .uniform_work_group_size: 1
    .uses_dynamic_stack: false
    .vgpr_count:     48
    .vgpr_spill_count: 0
    .wavefront_size: 64
  - .agpr_count:     0
    .args:
      - .offset:         0
        .size:           1
        .value_kind:     by_value
      - .offset:         4
        .size:           4
        .value_kind:     by_value
      - .offset:         8
        .size:           4
        .value_kind:     by_value
      - .offset:         16
        .size:           8
        .value_kind:     by_value
      - .address_space:  global
        .offset:         24
        .size:           8
        .value_kind:     global_buffer
      - .offset:         32
        .size:           8
        .value_kind:     by_value
      - .offset:         40
        .size:           8
        .value_kind:     by_value
      - .offset:         48
        .size:           8
        .value_kind:     by_value
      - .address_space:  global
        .offset:         56
        .size:           8
        .value_kind:     global_buffer
      - .offset:         64
        .size:           8
        .value_kind:     by_value
      - .offset:         72
        .size:           8
        .value_kind:     by_value
      - .offset:         80
        .size:           8
        .value_kind:     by_value
      - .address_space:  global
        .offset:         88
        .size:           8
        .value_kind:     global_buffer
      - .offset:         96
        .size:           8
        .value_kind:     by_value
      - .offset:         104
        .size:           8
        .value_kind:     by_value
      - .offset:         112
        .size:           8
        .value_kind:     by_value
      - .offset:         120
        .size:           4
        .value_kind:     by_value
      - .offset:         128
        .size:           4
        .value_kind:     hidden_block_count_x
      - .offset:         132
        .size:           4
        .value_kind:     hidden_block_count_y
      - .offset:         136
        .size:           4
        .value_kind:     hidden_block_count_z
      - .offset:         140
        .size:           2
        .value_kind:     hidden_group_size_x
      - .offset:         142
        .size:           2
        .value_kind:     hidden_group_size_y
      - .offset:         144
        .size:           2
        .value_kind:     hidden_group_size_z
      - .offset:         146
        .size:           2
        .value_kind:     hidden_remainder_x
      - .offset:         148
        .size:           2
        .value_kind:     hidden_remainder_y
      - .offset:         150
        .size:           2
        .value_kind:     hidden_remainder_z
      - .offset:         168
        .size:           8
        .value_kind:     hidden_global_offset_x
      - .offset:         176
        .size:           8
        .value_kind:     hidden_global_offset_y
      - .offset:         184
        .size:           8
        .value_kind:     hidden_global_offset_z
      - .offset:         192
        .size:           2
        .value_kind:     hidden_grid_dims
    .group_segment_fixed_size: 16384
    .kernarg_segment_align: 8
    .kernarg_segment_size: 384
    .language:       OpenCL C
    .language_version:
      - 2
      - 0
    .max_flat_workgroup_size: 1024
    .name:           _ZL24rocblas_symm_hemm_kernelILb0ELb1ELi32EdPKPKdPKPdEvbiiT2_T3_lllS8_lllT4_llli
    .private_segment_fixed_size: 0
    .sgpr_count:     38
    .sgpr_spill_count: 0
    .symbol:         _ZL24rocblas_symm_hemm_kernelILb0ELb1ELi32EdPKPKdPKPdEvbiiT2_T3_lllS8_lllT4_llli.kd
    .uniform_work_group_size: 1
    .uses_dynamic_stack: false
    .vgpr_count:     48
    .vgpr_spill_count: 0
    .wavefront_size: 64
  - .agpr_count:     0
    .args:
      - .offset:         0
        .size:           4
        .value_kind:     by_value
      - .offset:         4
        .size:           4
        .value_kind:     by_value
      - .address_space:  global
        .offset:         8
        .size:           8
        .value_kind:     global_buffer
      - .address_space:  global
        .offset:         16
        .size:           8
        .value_kind:     global_buffer
      - .offset:         24
        .size:           8
        .value_kind:     by_value
      - .offset:         32
        .size:           8
        .value_kind:     by_value
      - .offset:         40
        .size:           8
        .value_kind:     by_value
      - .offset:         48
        .size:           4
        .value_kind:     by_value
      - .offset:         56
        .size:           4
        .value_kind:     hidden_block_count_x
      - .offset:         60
        .size:           4
        .value_kind:     hidden_block_count_y
      - .offset:         64
        .size:           4
        .value_kind:     hidden_block_count_z
      - .offset:         68
        .size:           2
        .value_kind:     hidden_group_size_x
      - .offset:         70
        .size:           2
        .value_kind:     hidden_group_size_y
      - .offset:         72
        .size:           2
        .value_kind:     hidden_group_size_z
      - .offset:         74
        .size:           2
        .value_kind:     hidden_remainder_x
      - .offset:         76
        .size:           2
        .value_kind:     hidden_remainder_y
      - .offset:         78
        .size:           2
        .value_kind:     hidden_remainder_z
      - .offset:         96
        .size:           8
        .value_kind:     hidden_global_offset_x
      - .offset:         104
        .size:           8
        .value_kind:     hidden_global_offset_y
      - .offset:         112
        .size:           8
        .value_kind:     hidden_global_offset_z
      - .offset:         120
        .size:           2
        .value_kind:     hidden_grid_dims
    .group_segment_fixed_size: 0
    .kernarg_segment_align: 8
    .kernarg_segment_size: 312
    .language:       OpenCL C
    .language_version:
      - 2
      - 0
    .max_flat_workgroup_size: 1024
    .name:           _ZL25rocblas_symm_scale_kernelILi128ELi8EPK19rocblas_complex_numIfEPKPS1_EviiT1_T2_llli
    .private_segment_fixed_size: 0
    .sgpr_count:     24
    .sgpr_spill_count: 0
    .symbol:         _ZL25rocblas_symm_scale_kernelILi128ELi8EPK19rocblas_complex_numIfEPKPS1_EviiT1_T2_llli.kd
    .uniform_work_group_size: 1
    .uses_dynamic_stack: false
    .vgpr_count:     10
    .vgpr_spill_count: 0
    .wavefront_size: 64
  - .agpr_count:     0
    .args:
      - .offset:         0
        .size:           1
        .value_kind:     by_value
      - .offset:         4
        .size:           4
        .value_kind:     by_value
      - .offset:         8
        .size:           4
        .value_kind:     by_value
      - .address_space:  global
        .offset:         16
        .size:           8
        .value_kind:     global_buffer
      - .address_space:  global
        .offset:         24
        .size:           8
        .value_kind:     global_buffer
      - .offset:         32
        .size:           8
        .value_kind:     by_value
      - .offset:         40
        .size:           8
        .value_kind:     by_value
      - .offset:         48
        .size:           8
        .value_kind:     by_value
      - .address_space:  global
        .offset:         56
        .size:           8
        .value_kind:     global_buffer
      - .offset:         64
        .size:           8
        .value_kind:     by_value
      - .offset:         72
        .size:           8
        .value_kind:     by_value
      - .offset:         80
        .size:           8
        .value_kind:     by_value
      - .address_space:  global
        .offset:         88
        .size:           8
        .value_kind:     global_buffer
      - .offset:         96
        .size:           8
        .value_kind:     by_value
      - .offset:         104
        .size:           8
        .value_kind:     by_value
      - .offset:         112
        .size:           8
        .value_kind:     by_value
      - .offset:         120
        .size:           4
        .value_kind:     by_value
      - .offset:         128
        .size:           4
        .value_kind:     hidden_block_count_x
      - .offset:         132
        .size:           4
        .value_kind:     hidden_block_count_y
      - .offset:         136
        .size:           4
        .value_kind:     hidden_block_count_z
      - .offset:         140
        .size:           2
        .value_kind:     hidden_group_size_x
      - .offset:         142
        .size:           2
        .value_kind:     hidden_group_size_y
      - .offset:         144
        .size:           2
        .value_kind:     hidden_group_size_z
      - .offset:         146
        .size:           2
        .value_kind:     hidden_remainder_x
      - .offset:         148
        .size:           2
        .value_kind:     hidden_remainder_y
      - .offset:         150
        .size:           2
        .value_kind:     hidden_remainder_z
      - .offset:         168
        .size:           8
        .value_kind:     hidden_global_offset_x
      - .offset:         176
        .size:           8
        .value_kind:     hidden_global_offset_y
      - .offset:         184
        .size:           8
        .value_kind:     hidden_global_offset_z
      - .offset:         192
        .size:           2
        .value_kind:     hidden_grid_dims
    .group_segment_fixed_size: 16384
    .kernarg_segment_align: 8
    .kernarg_segment_size: 384
    .language:       OpenCL C
    .language_version:
      - 2
      - 0
    .max_flat_workgroup_size: 1024
    .name:           _ZL24rocblas_symm_hemm_kernelILb0ELb0ELi32EPK19rocblas_complex_numIfEPKS3_PKPS1_EvbiiT2_T3_lllSA_lllT4_llli
    .private_segment_fixed_size: 0
    .sgpr_count:     38
    .sgpr_spill_count: 0
    .symbol:         _ZL24rocblas_symm_hemm_kernelILb0ELb0ELi32EPK19rocblas_complex_numIfEPKS3_PKPS1_EvbiiT2_T3_lllSA_lllT4_llli.kd
    .uniform_work_group_size: 1
    .uses_dynamic_stack: false
    .vgpr_count:     40
    .vgpr_spill_count: 0
    .wavefront_size: 64
  - .agpr_count:     0
    .args:
      - .offset:         0
        .size:           1
        .value_kind:     by_value
      - .offset:         4
        .size:           4
        .value_kind:     by_value
      - .offset:         8
        .size:           4
        .value_kind:     by_value
      - .address_space:  global
        .offset:         16
        .size:           8
        .value_kind:     global_buffer
      - .address_space:  global
        .offset:         24
        .size:           8
        .value_kind:     global_buffer
      - .offset:         32
        .size:           8
        .value_kind:     by_value
      - .offset:         40
        .size:           8
        .value_kind:     by_value
      - .offset:         48
        .size:           8
        .value_kind:     by_value
      - .address_space:  global
        .offset:         56
        .size:           8
        .value_kind:     global_buffer
      - .offset:         64
        .size:           8
        .value_kind:     by_value
      - .offset:         72
        .size:           8
        .value_kind:     by_value
      - .offset:         80
        .size:           8
        .value_kind:     by_value
      - .address_space:  global
        .offset:         88
        .size:           8
        .value_kind:     global_buffer
      - .offset:         96
        .size:           8
        .value_kind:     by_value
      - .offset:         104
        .size:           8
        .value_kind:     by_value
      - .offset:         112
        .size:           8
        .value_kind:     by_value
      - .offset:         120
        .size:           4
        .value_kind:     by_value
      - .offset:         128
        .size:           4
        .value_kind:     hidden_block_count_x
      - .offset:         132
        .size:           4
        .value_kind:     hidden_block_count_y
      - .offset:         136
        .size:           4
        .value_kind:     hidden_block_count_z
      - .offset:         140
        .size:           2
        .value_kind:     hidden_group_size_x
      - .offset:         142
        .size:           2
        .value_kind:     hidden_group_size_y
      - .offset:         144
        .size:           2
        .value_kind:     hidden_group_size_z
      - .offset:         146
        .size:           2
        .value_kind:     hidden_remainder_x
      - .offset:         148
        .size:           2
        .value_kind:     hidden_remainder_y
      - .offset:         150
        .size:           2
        .value_kind:     hidden_remainder_z
      - .offset:         168
        .size:           8
        .value_kind:     hidden_global_offset_x
      - .offset:         176
        .size:           8
        .value_kind:     hidden_global_offset_y
      - .offset:         184
        .size:           8
        .value_kind:     hidden_global_offset_z
      - .offset:         192
        .size:           2
        .value_kind:     hidden_grid_dims
    .group_segment_fixed_size: 16384
    .kernarg_segment_align: 8
    .kernarg_segment_size: 384
    .language:       OpenCL C
    .language_version:
      - 2
      - 0
    .max_flat_workgroup_size: 1024
    .name:           _ZL24rocblas_symm_hemm_kernelILb0ELb1ELi32EPK19rocblas_complex_numIfEPKS3_PKPS1_EvbiiT2_T3_lllSA_lllT4_llli
    .private_segment_fixed_size: 0
    .sgpr_count:     38
    .sgpr_spill_count: 0
    .symbol:         _ZL24rocblas_symm_hemm_kernelILb0ELb1ELi32EPK19rocblas_complex_numIfEPKS3_PKPS1_EvbiiT2_T3_lllSA_lllT4_llli.kd
    .uniform_work_group_size: 1
    .uses_dynamic_stack: false
    .vgpr_count:     40
    .vgpr_spill_count: 0
    .wavefront_size: 64
  - .agpr_count:     0
    .args:
      - .offset:         0
        .size:           4
        .value_kind:     by_value
      - .offset:         4
        .size:           4
        .value_kind:     by_value
      - .offset:         8
        .size:           8
        .value_kind:     by_value
      - .address_space:  global
        .offset:         16
        .size:           8
        .value_kind:     global_buffer
      - .offset:         24
        .size:           8
        .value_kind:     by_value
      - .offset:         32
        .size:           8
        .value_kind:     by_value
      - .offset:         40
        .size:           8
        .value_kind:     by_value
      - .offset:         48
        .size:           4
        .value_kind:     by_value
      - .offset:         56
        .size:           4
        .value_kind:     hidden_block_count_x
      - .offset:         60
        .size:           4
        .value_kind:     hidden_block_count_y
      - .offset:         64
        .size:           4
        .value_kind:     hidden_block_count_z
      - .offset:         68
        .size:           2
        .value_kind:     hidden_group_size_x
      - .offset:         70
        .size:           2
        .value_kind:     hidden_group_size_y
      - .offset:         72
        .size:           2
        .value_kind:     hidden_group_size_z
      - .offset:         74
        .size:           2
        .value_kind:     hidden_remainder_x
      - .offset:         76
        .size:           2
        .value_kind:     hidden_remainder_y
      - .offset:         78
        .size:           2
        .value_kind:     hidden_remainder_z
      - .offset:         96
        .size:           8
        .value_kind:     hidden_global_offset_x
      - .offset:         104
        .size:           8
        .value_kind:     hidden_global_offset_y
      - .offset:         112
        .size:           8
        .value_kind:     hidden_global_offset_z
      - .offset:         120
        .size:           2
        .value_kind:     hidden_grid_dims
    .group_segment_fixed_size: 0
    .kernarg_segment_align: 8
    .kernarg_segment_size: 312
    .language:       OpenCL C
    .language_version:
      - 2
      - 0
    .max_flat_workgroup_size: 1024
    .name:           _ZL25rocblas_symm_scale_kernelILi128ELi8E19rocblas_complex_numIfEPKPS1_EviiT1_T2_llli
    .private_segment_fixed_size: 0
    .sgpr_count:     24
    .sgpr_spill_count: 0
    .symbol:         _ZL25rocblas_symm_scale_kernelILi128ELi8E19rocblas_complex_numIfEPKPS1_EviiT1_T2_llli.kd
    .uniform_work_group_size: 1
    .uses_dynamic_stack: false
    .vgpr_count:     10
    .vgpr_spill_count: 0
    .wavefront_size: 64
  - .agpr_count:     0
    .args:
      - .offset:         0
        .size:           1
        .value_kind:     by_value
      - .offset:         4
        .size:           4
        .value_kind:     by_value
      - .offset:         8
        .size:           4
        .value_kind:     by_value
      - .offset:         12
        .size:           8
        .value_kind:     by_value
      - .address_space:  global
        .offset:         24
        .size:           8
        .value_kind:     global_buffer
      - .offset:         32
        .size:           8
        .value_kind:     by_value
      - .offset:         40
        .size:           8
        .value_kind:     by_value
      - .offset:         48
        .size:           8
        .value_kind:     by_value
      - .address_space:  global
        .offset:         56
        .size:           8
        .value_kind:     global_buffer
      - .offset:         64
        .size:           8
        .value_kind:     by_value
      - .offset:         72
        .size:           8
        .value_kind:     by_value
      - .offset:         80
        .size:           8
        .value_kind:     by_value
      - .address_space:  global
        .offset:         88
        .size:           8
        .value_kind:     global_buffer
      - .offset:         96
        .size:           8
        .value_kind:     by_value
      - .offset:         104
        .size:           8
        .value_kind:     by_value
      - .offset:         112
        .size:           8
        .value_kind:     by_value
      - .offset:         120
        .size:           4
        .value_kind:     by_value
      - .offset:         128
        .size:           4
        .value_kind:     hidden_block_count_x
      - .offset:         132
        .size:           4
        .value_kind:     hidden_block_count_y
      - .offset:         136
        .size:           4
        .value_kind:     hidden_block_count_z
      - .offset:         140
        .size:           2
        .value_kind:     hidden_group_size_x
      - .offset:         142
        .size:           2
        .value_kind:     hidden_group_size_y
      - .offset:         144
        .size:           2
        .value_kind:     hidden_group_size_z
      - .offset:         146
        .size:           2
        .value_kind:     hidden_remainder_x
      - .offset:         148
        .size:           2
        .value_kind:     hidden_remainder_y
      - .offset:         150
        .size:           2
        .value_kind:     hidden_remainder_z
      - .offset:         168
        .size:           8
        .value_kind:     hidden_global_offset_x
      - .offset:         176
        .size:           8
        .value_kind:     hidden_global_offset_y
      - .offset:         184
        .size:           8
        .value_kind:     hidden_global_offset_z
      - .offset:         192
        .size:           2
        .value_kind:     hidden_grid_dims
    .group_segment_fixed_size: 16384
    .kernarg_segment_align: 8
    .kernarg_segment_size: 384
    .language:       OpenCL C
    .language_version:
      - 2
      - 0
    .max_flat_workgroup_size: 1024
    .name:           _ZL24rocblas_symm_hemm_kernelILb0ELb0ELi32E19rocblas_complex_numIfEPKPKS1_PKPS1_EvbiiT2_T3_lllSA_lllT4_llli
    .private_segment_fixed_size: 0
    .sgpr_count:     40
    .sgpr_spill_count: 0
    .symbol:         _ZL24rocblas_symm_hemm_kernelILb0ELb0ELi32E19rocblas_complex_numIfEPKPKS1_PKPS1_EvbiiT2_T3_lllSA_lllT4_llli.kd
    .uniform_work_group_size: 1
    .uses_dynamic_stack: false
    .vgpr_count:     40
    .vgpr_spill_count: 0
    .wavefront_size: 64
  - .agpr_count:     0
    .args:
      - .offset:         0
        .size:           1
        .value_kind:     by_value
      - .offset:         4
        .size:           4
        .value_kind:     by_value
      - .offset:         8
        .size:           4
        .value_kind:     by_value
      - .offset:         12
        .size:           8
        .value_kind:     by_value
      - .address_space:  global
        .offset:         24
        .size:           8
        .value_kind:     global_buffer
      - .offset:         32
        .size:           8
        .value_kind:     by_value
      - .offset:         40
        .size:           8
        .value_kind:     by_value
      - .offset:         48
        .size:           8
        .value_kind:     by_value
      - .address_space:  global
        .offset:         56
        .size:           8
        .value_kind:     global_buffer
      - .offset:         64
        .size:           8
        .value_kind:     by_value
      - .offset:         72
        .size:           8
        .value_kind:     by_value
      - .offset:         80
        .size:           8
        .value_kind:     by_value
      - .address_space:  global
        .offset:         88
        .size:           8
        .value_kind:     global_buffer
      - .offset:         96
        .size:           8
        .value_kind:     by_value
      - .offset:         104
        .size:           8
        .value_kind:     by_value
      - .offset:         112
        .size:           8
        .value_kind:     by_value
      - .offset:         120
        .size:           4
        .value_kind:     by_value
      - .offset:         128
        .size:           4
        .value_kind:     hidden_block_count_x
      - .offset:         132
        .size:           4
        .value_kind:     hidden_block_count_y
      - .offset:         136
        .size:           4
        .value_kind:     hidden_block_count_z
      - .offset:         140
        .size:           2
        .value_kind:     hidden_group_size_x
      - .offset:         142
        .size:           2
        .value_kind:     hidden_group_size_y
      - .offset:         144
        .size:           2
        .value_kind:     hidden_group_size_z
      - .offset:         146
        .size:           2
        .value_kind:     hidden_remainder_x
      - .offset:         148
        .size:           2
        .value_kind:     hidden_remainder_y
      - .offset:         150
        .size:           2
        .value_kind:     hidden_remainder_z
      - .offset:         168
        .size:           8
        .value_kind:     hidden_global_offset_x
      - .offset:         176
        .size:           8
        .value_kind:     hidden_global_offset_y
      - .offset:         184
        .size:           8
        .value_kind:     hidden_global_offset_z
      - .offset:         192
        .size:           2
        .value_kind:     hidden_grid_dims
    .group_segment_fixed_size: 16384
    .kernarg_segment_align: 8
    .kernarg_segment_size: 384
    .language:       OpenCL C
    .language_version:
      - 2
      - 0
    .max_flat_workgroup_size: 1024
    .name:           _ZL24rocblas_symm_hemm_kernelILb0ELb1ELi32E19rocblas_complex_numIfEPKPKS1_PKPS1_EvbiiT2_T3_lllSA_lllT4_llli
    .private_segment_fixed_size: 0
    .sgpr_count:     46
    .sgpr_spill_count: 0
    .symbol:         _ZL24rocblas_symm_hemm_kernelILb0ELb1ELi32E19rocblas_complex_numIfEPKPKS1_PKPS1_EvbiiT2_T3_lllSA_lllT4_llli.kd
    .uniform_work_group_size: 1
    .uses_dynamic_stack: false
    .vgpr_count:     40
    .vgpr_spill_count: 0
    .wavefront_size: 64
  - .agpr_count:     0
    .args:
      - .offset:         0
        .size:           4
        .value_kind:     by_value
      - .offset:         4
        .size:           4
        .value_kind:     by_value
      - .address_space:  global
        .offset:         8
        .size:           8
        .value_kind:     global_buffer
      - .address_space:  global
        .offset:         16
        .size:           8
        .value_kind:     global_buffer
      - .offset:         24
        .size:           8
        .value_kind:     by_value
      - .offset:         32
        .size:           8
        .value_kind:     by_value
      - .offset:         40
        .size:           8
        .value_kind:     by_value
      - .offset:         48
        .size:           4
        .value_kind:     by_value
      - .offset:         56
        .size:           4
        .value_kind:     hidden_block_count_x
      - .offset:         60
        .size:           4
        .value_kind:     hidden_block_count_y
      - .offset:         64
        .size:           4
        .value_kind:     hidden_block_count_z
      - .offset:         68
        .size:           2
        .value_kind:     hidden_group_size_x
      - .offset:         70
        .size:           2
        .value_kind:     hidden_group_size_y
      - .offset:         72
        .size:           2
        .value_kind:     hidden_group_size_z
      - .offset:         74
        .size:           2
        .value_kind:     hidden_remainder_x
      - .offset:         76
        .size:           2
        .value_kind:     hidden_remainder_y
      - .offset:         78
        .size:           2
        .value_kind:     hidden_remainder_z
      - .offset:         96
        .size:           8
        .value_kind:     hidden_global_offset_x
      - .offset:         104
        .size:           8
        .value_kind:     hidden_global_offset_y
      - .offset:         112
        .size:           8
        .value_kind:     hidden_global_offset_z
      - .offset:         120
        .size:           2
        .value_kind:     hidden_grid_dims
    .group_segment_fixed_size: 0
    .kernarg_segment_align: 8
    .kernarg_segment_size: 312
    .language:       OpenCL C
    .language_version:
      - 2
      - 0
    .max_flat_workgroup_size: 1024
    .name:           _ZL25rocblas_symm_scale_kernelILi128ELi8EPK19rocblas_complex_numIdEPKPS1_EviiT1_T2_llli
    .private_segment_fixed_size: 0
    .sgpr_count:     28
    .sgpr_spill_count: 0
    .symbol:         _ZL25rocblas_symm_scale_kernelILi128ELi8EPK19rocblas_complex_numIdEPKPS1_EviiT1_T2_llli.kd
    .uniform_work_group_size: 1
    .uses_dynamic_stack: false
    .vgpr_count:     12
    .vgpr_spill_count: 0
    .wavefront_size: 64
  - .agpr_count:     0
    .args:
      - .offset:         0
        .size:           1
        .value_kind:     by_value
      - .offset:         4
        .size:           4
        .value_kind:     by_value
      - .offset:         8
        .size:           4
        .value_kind:     by_value
      - .address_space:  global
        .offset:         16
        .size:           8
        .value_kind:     global_buffer
      - .address_space:  global
        .offset:         24
        .size:           8
        .value_kind:     global_buffer
      - .offset:         32
        .size:           8
        .value_kind:     by_value
      - .offset:         40
        .size:           8
        .value_kind:     by_value
      - .offset:         48
        .size:           8
        .value_kind:     by_value
      - .address_space:  global
        .offset:         56
        .size:           8
        .value_kind:     global_buffer
      - .offset:         64
        .size:           8
        .value_kind:     by_value
      - .offset:         72
        .size:           8
        .value_kind:     by_value
      - .offset:         80
        .size:           8
        .value_kind:     by_value
      - .address_space:  global
        .offset:         88
        .size:           8
        .value_kind:     global_buffer
      - .offset:         96
        .size:           8
        .value_kind:     by_value
      - .offset:         104
        .size:           8
        .value_kind:     by_value
      - .offset:         112
        .size:           8
        .value_kind:     by_value
      - .offset:         120
        .size:           4
        .value_kind:     by_value
      - .offset:         128
        .size:           4
        .value_kind:     hidden_block_count_x
      - .offset:         132
        .size:           4
        .value_kind:     hidden_block_count_y
      - .offset:         136
        .size:           4
        .value_kind:     hidden_block_count_z
      - .offset:         140
        .size:           2
        .value_kind:     hidden_group_size_x
      - .offset:         142
        .size:           2
        .value_kind:     hidden_group_size_y
      - .offset:         144
        .size:           2
        .value_kind:     hidden_group_size_z
      - .offset:         146
        .size:           2
        .value_kind:     hidden_remainder_x
      - .offset:         148
        .size:           2
        .value_kind:     hidden_remainder_y
      - .offset:         150
        .size:           2
        .value_kind:     hidden_remainder_z
      - .offset:         168
        .size:           8
        .value_kind:     hidden_global_offset_x
      - .offset:         176
        .size:           8
        .value_kind:     hidden_global_offset_y
      - .offset:         184
        .size:           8
        .value_kind:     hidden_global_offset_z
      - .offset:         192
        .size:           2
        .value_kind:     hidden_grid_dims
    .group_segment_fixed_size: 32768
    .kernarg_segment_align: 8
    .kernarg_segment_size: 384
    .language:       OpenCL C
    .language_version:
      - 2
      - 0
    .max_flat_workgroup_size: 1024
    .name:           _ZL24rocblas_symm_hemm_kernelILb0ELb0ELi32EPK19rocblas_complex_numIdEPKS3_PKPS1_EvbiiT2_T3_lllSA_lllT4_llli
    .private_segment_fixed_size: 0
    .sgpr_count:     38
    .sgpr_spill_count: 0
    .symbol:         _ZL24rocblas_symm_hemm_kernelILb0ELb0ELi32EPK19rocblas_complex_numIdEPKS3_PKPS1_EvbiiT2_T3_lllSA_lllT4_llli.kd
    .uniform_work_group_size: 1
    .uses_dynamic_stack: false
    .vgpr_count:     40
    .vgpr_spill_count: 0
    .wavefront_size: 64
  - .agpr_count:     0
    .args:
      - .offset:         0
        .size:           1
        .value_kind:     by_value
      - .offset:         4
        .size:           4
        .value_kind:     by_value
      - .offset:         8
        .size:           4
        .value_kind:     by_value
      - .address_space:  global
        .offset:         16
        .size:           8
        .value_kind:     global_buffer
      - .address_space:  global
        .offset:         24
        .size:           8
        .value_kind:     global_buffer
      - .offset:         32
        .size:           8
        .value_kind:     by_value
      - .offset:         40
        .size:           8
        .value_kind:     by_value
      - .offset:         48
        .size:           8
        .value_kind:     by_value
      - .address_space:  global
        .offset:         56
        .size:           8
        .value_kind:     global_buffer
      - .offset:         64
        .size:           8
        .value_kind:     by_value
      - .offset:         72
        .size:           8
        .value_kind:     by_value
      - .offset:         80
        .size:           8
        .value_kind:     by_value
      - .address_space:  global
        .offset:         88
        .size:           8
        .value_kind:     global_buffer
      - .offset:         96
        .size:           8
        .value_kind:     by_value
      - .offset:         104
        .size:           8
        .value_kind:     by_value
      - .offset:         112
        .size:           8
        .value_kind:     by_value
      - .offset:         120
        .size:           4
        .value_kind:     by_value
      - .offset:         128
        .size:           4
        .value_kind:     hidden_block_count_x
      - .offset:         132
        .size:           4
        .value_kind:     hidden_block_count_y
      - .offset:         136
        .size:           4
        .value_kind:     hidden_block_count_z
      - .offset:         140
        .size:           2
        .value_kind:     hidden_group_size_x
      - .offset:         142
        .size:           2
        .value_kind:     hidden_group_size_y
      - .offset:         144
        .size:           2
        .value_kind:     hidden_group_size_z
      - .offset:         146
        .size:           2
        .value_kind:     hidden_remainder_x
      - .offset:         148
        .size:           2
        .value_kind:     hidden_remainder_y
      - .offset:         150
        .size:           2
        .value_kind:     hidden_remainder_z
      - .offset:         168
        .size:           8
        .value_kind:     hidden_global_offset_x
      - .offset:         176
        .size:           8
        .value_kind:     hidden_global_offset_y
      - .offset:         184
        .size:           8
        .value_kind:     hidden_global_offset_z
      - .offset:         192
        .size:           2
        .value_kind:     hidden_grid_dims
    .group_segment_fixed_size: 32768
    .kernarg_segment_align: 8
    .kernarg_segment_size: 384
    .language:       OpenCL C
    .language_version:
      - 2
      - 0
    .max_flat_workgroup_size: 1024
    .name:           _ZL24rocblas_symm_hemm_kernelILb0ELb1ELi32EPK19rocblas_complex_numIdEPKS3_PKPS1_EvbiiT2_T3_lllSA_lllT4_llli
    .private_segment_fixed_size: 0
    .sgpr_count:     46
    .sgpr_spill_count: 0
    .symbol:         _ZL24rocblas_symm_hemm_kernelILb0ELb1ELi32EPK19rocblas_complex_numIdEPKS3_PKPS1_EvbiiT2_T3_lllSA_lllT4_llli.kd
    .uniform_work_group_size: 1
    .uses_dynamic_stack: false
    .vgpr_count:     40
    .vgpr_spill_count: 0
    .wavefront_size: 64
  - .agpr_count:     0
    .args:
      - .offset:         0
        .size:           4
        .value_kind:     by_value
      - .offset:         4
        .size:           4
        .value_kind:     by_value
      - .offset:         8
        .size:           16
        .value_kind:     by_value
      - .address_space:  global
        .offset:         24
        .size:           8
        .value_kind:     global_buffer
      - .offset:         32
        .size:           8
        .value_kind:     by_value
      - .offset:         40
        .size:           8
        .value_kind:     by_value
      - .offset:         48
        .size:           8
        .value_kind:     by_value
      - .offset:         56
        .size:           4
        .value_kind:     by_value
      - .offset:         64
        .size:           4
        .value_kind:     hidden_block_count_x
      - .offset:         68
        .size:           4
        .value_kind:     hidden_block_count_y
      - .offset:         72
        .size:           4
        .value_kind:     hidden_block_count_z
      - .offset:         76
        .size:           2
        .value_kind:     hidden_group_size_x
      - .offset:         78
        .size:           2
        .value_kind:     hidden_group_size_y
      - .offset:         80
        .size:           2
        .value_kind:     hidden_group_size_z
      - .offset:         82
        .size:           2
        .value_kind:     hidden_remainder_x
      - .offset:         84
        .size:           2
        .value_kind:     hidden_remainder_y
      - .offset:         86
        .size:           2
        .value_kind:     hidden_remainder_z
      - .offset:         104
        .size:           8
        .value_kind:     hidden_global_offset_x
      - .offset:         112
        .size:           8
        .value_kind:     hidden_global_offset_y
      - .offset:         120
        .size:           8
        .value_kind:     hidden_global_offset_z
      - .offset:         128
        .size:           2
        .value_kind:     hidden_grid_dims
    .group_segment_fixed_size: 0
    .kernarg_segment_align: 8
    .kernarg_segment_size: 320
    .language:       OpenCL C
    .language_version:
      - 2
      - 0
    .max_flat_workgroup_size: 1024
    .name:           _ZL25rocblas_symm_scale_kernelILi128ELi8E19rocblas_complex_numIdEPKPS1_EviiT1_T2_llli
    .private_segment_fixed_size: 0
    .sgpr_count:     28
    .sgpr_spill_count: 0
    .symbol:         _ZL25rocblas_symm_scale_kernelILi128ELi8E19rocblas_complex_numIdEPKPS1_EviiT1_T2_llli.kd
    .uniform_work_group_size: 1
    .uses_dynamic_stack: false
    .vgpr_count:     12
    .vgpr_spill_count: 0
    .wavefront_size: 64
  - .agpr_count:     0
    .args:
      - .offset:         0
        .size:           1
        .value_kind:     by_value
      - .offset:         4
        .size:           4
        .value_kind:     by_value
      - .offset:         8
        .size:           4
        .value_kind:     by_value
      - .offset:         16
        .size:           16
        .value_kind:     by_value
      - .address_space:  global
        .offset:         32
        .size:           8
        .value_kind:     global_buffer
      - .offset:         40
        .size:           8
        .value_kind:     by_value
      - .offset:         48
        .size:           8
        .value_kind:     by_value
      - .offset:         56
        .size:           8
        .value_kind:     by_value
      - .address_space:  global
        .offset:         64
        .size:           8
        .value_kind:     global_buffer
      - .offset:         72
        .size:           8
        .value_kind:     by_value
      - .offset:         80
        .size:           8
        .value_kind:     by_value
      - .offset:         88
        .size:           8
        .value_kind:     by_value
      - .address_space:  global
        .offset:         96
        .size:           8
        .value_kind:     global_buffer
      - .offset:         104
        .size:           8
        .value_kind:     by_value
      - .offset:         112
        .size:           8
        .value_kind:     by_value
      - .offset:         120
        .size:           8
        .value_kind:     by_value
      - .offset:         128
        .size:           4
        .value_kind:     by_value
      - .offset:         136
        .size:           4
        .value_kind:     hidden_block_count_x
      - .offset:         140
        .size:           4
        .value_kind:     hidden_block_count_y
      - .offset:         144
        .size:           4
        .value_kind:     hidden_block_count_z
      - .offset:         148
        .size:           2
        .value_kind:     hidden_group_size_x
      - .offset:         150
        .size:           2
        .value_kind:     hidden_group_size_y
      - .offset:         152
        .size:           2
        .value_kind:     hidden_group_size_z
      - .offset:         154
        .size:           2
        .value_kind:     hidden_remainder_x
      - .offset:         156
        .size:           2
        .value_kind:     hidden_remainder_y
      - .offset:         158
        .size:           2
        .value_kind:     hidden_remainder_z
      - .offset:         176
        .size:           8
        .value_kind:     hidden_global_offset_x
      - .offset:         184
        .size:           8
        .value_kind:     hidden_global_offset_y
      - .offset:         192
        .size:           8
        .value_kind:     hidden_global_offset_z
      - .offset:         200
        .size:           2
        .value_kind:     hidden_grid_dims
    .group_segment_fixed_size: 32768
    .kernarg_segment_align: 8
    .kernarg_segment_size: 392
    .language:       OpenCL C
    .language_version:
      - 2
      - 0
    .max_flat_workgroup_size: 1024
    .name:           _ZL24rocblas_symm_hemm_kernelILb0ELb0ELi32E19rocblas_complex_numIdEPKPKS1_PKPS1_EvbiiT2_T3_lllSA_lllT4_llli
    .private_segment_fixed_size: 0
    .sgpr_count:     38
    .sgpr_spill_count: 0
    .symbol:         _ZL24rocblas_symm_hemm_kernelILb0ELb0ELi32E19rocblas_complex_numIdEPKPKS1_PKPS1_EvbiiT2_T3_lllSA_lllT4_llli.kd
    .uniform_work_group_size: 1
    .uses_dynamic_stack: false
    .vgpr_count:     40
    .vgpr_spill_count: 0
    .wavefront_size: 64
  - .agpr_count:     0
    .args:
      - .offset:         0
        .size:           1
        .value_kind:     by_value
      - .offset:         4
        .size:           4
        .value_kind:     by_value
      - .offset:         8
        .size:           4
        .value_kind:     by_value
      - .offset:         16
        .size:           16
        .value_kind:     by_value
      - .address_space:  global
        .offset:         32
        .size:           8
        .value_kind:     global_buffer
      - .offset:         40
        .size:           8
        .value_kind:     by_value
      - .offset:         48
        .size:           8
        .value_kind:     by_value
      - .offset:         56
        .size:           8
        .value_kind:     by_value
      - .address_space:  global
        .offset:         64
        .size:           8
        .value_kind:     global_buffer
      - .offset:         72
        .size:           8
        .value_kind:     by_value
      - .offset:         80
        .size:           8
        .value_kind:     by_value
      - .offset:         88
        .size:           8
        .value_kind:     by_value
      - .address_space:  global
        .offset:         96
        .size:           8
        .value_kind:     global_buffer
      - .offset:         104
        .size:           8
        .value_kind:     by_value
      - .offset:         112
        .size:           8
        .value_kind:     by_value
      - .offset:         120
        .size:           8
        .value_kind:     by_value
      - .offset:         128
        .size:           4
        .value_kind:     by_value
      - .offset:         136
        .size:           4
        .value_kind:     hidden_block_count_x
      - .offset:         140
        .size:           4
        .value_kind:     hidden_block_count_y
      - .offset:         144
        .size:           4
        .value_kind:     hidden_block_count_z
      - .offset:         148
        .size:           2
        .value_kind:     hidden_group_size_x
      - .offset:         150
        .size:           2
        .value_kind:     hidden_group_size_y
      - .offset:         152
        .size:           2
        .value_kind:     hidden_group_size_z
      - .offset:         154
        .size:           2
        .value_kind:     hidden_remainder_x
      - .offset:         156
        .size:           2
        .value_kind:     hidden_remainder_y
      - .offset:         158
        .size:           2
        .value_kind:     hidden_remainder_z
      - .offset:         176
        .size:           8
        .value_kind:     hidden_global_offset_x
      - .offset:         184
        .size:           8
        .value_kind:     hidden_global_offset_y
      - .offset:         192
        .size:           8
        .value_kind:     hidden_global_offset_z
      - .offset:         200
        .size:           2
        .value_kind:     hidden_grid_dims
    .group_segment_fixed_size: 32768
    .kernarg_segment_align: 8
    .kernarg_segment_size: 392
    .language:       OpenCL C
    .language_version:
      - 2
      - 0
    .max_flat_workgroup_size: 1024
    .name:           _ZL24rocblas_symm_hemm_kernelILb0ELb1ELi32E19rocblas_complex_numIdEPKPKS1_PKPS1_EvbiiT2_T3_lllSA_lllT4_llli
    .private_segment_fixed_size: 0
    .sgpr_count:     38
    .sgpr_spill_count: 0
    .symbol:         _ZL24rocblas_symm_hemm_kernelILb0ELb1ELi32E19rocblas_complex_numIdEPKPKS1_PKPS1_EvbiiT2_T3_lllSA_lllT4_llli.kd
    .uniform_work_group_size: 1
    .uses_dynamic_stack: false
    .vgpr_count:     40
    .vgpr_spill_count: 0
    .wavefront_size: 64
  - .agpr_count:     0
    .args:
      - .offset:         0
        .size:           1
        .value_kind:     by_value
      - .offset:         4
        .size:           4
        .value_kind:     by_value
      - .offset:         8
        .size:           4
        .value_kind:     by_value
      - .address_space:  global
        .offset:         16
        .size:           8
        .value_kind:     global_buffer
      - .address_space:  global
        .offset:         24
        .size:           8
        .value_kind:     global_buffer
      - .offset:         32
        .size:           8
        .value_kind:     by_value
      - .offset:         40
        .size:           8
        .value_kind:     by_value
      - .offset:         48
        .size:           8
        .value_kind:     by_value
      - .address_space:  global
        .offset:         56
        .size:           8
        .value_kind:     global_buffer
      - .offset:         64
        .size:           8
        .value_kind:     by_value
      - .offset:         72
        .size:           8
        .value_kind:     by_value
      - .offset:         80
        .size:           8
        .value_kind:     by_value
      - .address_space:  global
        .offset:         88
        .size:           8
        .value_kind:     global_buffer
      - .offset:         96
        .size:           8
        .value_kind:     by_value
      - .offset:         104
        .size:           8
        .value_kind:     by_value
      - .offset:         112
        .size:           8
        .value_kind:     by_value
      - .offset:         120
        .size:           4
        .value_kind:     by_value
      - .offset:         128
        .size:           4
        .value_kind:     hidden_block_count_x
      - .offset:         132
        .size:           4
        .value_kind:     hidden_block_count_y
      - .offset:         136
        .size:           4
        .value_kind:     hidden_block_count_z
      - .offset:         140
        .size:           2
        .value_kind:     hidden_group_size_x
      - .offset:         142
        .size:           2
        .value_kind:     hidden_group_size_y
      - .offset:         144
        .size:           2
        .value_kind:     hidden_group_size_z
      - .offset:         146
        .size:           2
        .value_kind:     hidden_remainder_x
      - .offset:         148
        .size:           2
        .value_kind:     hidden_remainder_y
      - .offset:         150
        .size:           2
        .value_kind:     hidden_remainder_z
      - .offset:         168
        .size:           8
        .value_kind:     hidden_global_offset_x
      - .offset:         176
        .size:           8
        .value_kind:     hidden_global_offset_y
      - .offset:         184
        .size:           8
        .value_kind:     hidden_global_offset_z
      - .offset:         192
        .size:           2
        .value_kind:     hidden_grid_dims
    .group_segment_fixed_size: 16384
    .kernarg_segment_align: 8
    .kernarg_segment_size: 384
    .language:       OpenCL C
    .language_version:
      - 2
      - 0
    .max_flat_workgroup_size: 1024
    .name:           _ZL24rocblas_symm_hemm_kernelILb1ELb0ELi32EPK19rocblas_complex_numIfEPKS3_PKPS1_EvbiiT2_T3_lllSA_lllT4_llli
    .private_segment_fixed_size: 0
    .sgpr_count:     42
    .sgpr_spill_count: 0
    .symbol:         _ZL24rocblas_symm_hemm_kernelILb1ELb0ELi32EPK19rocblas_complex_numIfEPKS3_PKPS1_EvbiiT2_T3_lllSA_lllT4_llli.kd
    .uniform_work_group_size: 1
    .uses_dynamic_stack: false
    .vgpr_count:     46
    .vgpr_spill_count: 0
    .wavefront_size: 64
  - .agpr_count:     0
    .args:
      - .offset:         0
        .size:           1
        .value_kind:     by_value
      - .offset:         4
        .size:           4
        .value_kind:     by_value
      - .offset:         8
        .size:           4
        .value_kind:     by_value
      - .address_space:  global
        .offset:         16
        .size:           8
        .value_kind:     global_buffer
      - .address_space:  global
        .offset:         24
        .size:           8
        .value_kind:     global_buffer
      - .offset:         32
        .size:           8
        .value_kind:     by_value
      - .offset:         40
        .size:           8
        .value_kind:     by_value
      - .offset:         48
        .size:           8
        .value_kind:     by_value
      - .address_space:  global
        .offset:         56
        .size:           8
        .value_kind:     global_buffer
      - .offset:         64
        .size:           8
        .value_kind:     by_value
      - .offset:         72
        .size:           8
        .value_kind:     by_value
      - .offset:         80
        .size:           8
        .value_kind:     by_value
      - .address_space:  global
        .offset:         88
        .size:           8
        .value_kind:     global_buffer
      - .offset:         96
        .size:           8
        .value_kind:     by_value
      - .offset:         104
        .size:           8
        .value_kind:     by_value
      - .offset:         112
        .size:           8
        .value_kind:     by_value
      - .offset:         120
        .size:           4
        .value_kind:     by_value
      - .offset:         128
        .size:           4
        .value_kind:     hidden_block_count_x
      - .offset:         132
        .size:           4
        .value_kind:     hidden_block_count_y
      - .offset:         136
        .size:           4
        .value_kind:     hidden_block_count_z
      - .offset:         140
        .size:           2
        .value_kind:     hidden_group_size_x
      - .offset:         142
        .size:           2
        .value_kind:     hidden_group_size_y
      - .offset:         144
        .size:           2
        .value_kind:     hidden_group_size_z
      - .offset:         146
        .size:           2
        .value_kind:     hidden_remainder_x
      - .offset:         148
        .size:           2
        .value_kind:     hidden_remainder_y
      - .offset:         150
        .size:           2
        .value_kind:     hidden_remainder_z
      - .offset:         168
        .size:           8
        .value_kind:     hidden_global_offset_x
      - .offset:         176
        .size:           8
        .value_kind:     hidden_global_offset_y
      - .offset:         184
        .size:           8
        .value_kind:     hidden_global_offset_z
      - .offset:         192
        .size:           2
        .value_kind:     hidden_grid_dims
    .group_segment_fixed_size: 16384
    .kernarg_segment_align: 8
    .kernarg_segment_size: 384
    .language:       OpenCL C
    .language_version:
      - 2
      - 0
    .max_flat_workgroup_size: 1024
    .name:           _ZL24rocblas_symm_hemm_kernelILb1ELb1ELi32EPK19rocblas_complex_numIfEPKS3_PKPS1_EvbiiT2_T3_lllSA_lllT4_llli
    .private_segment_fixed_size: 0
    .sgpr_count:     38
    .sgpr_spill_count: 0
    .symbol:         _ZL24rocblas_symm_hemm_kernelILb1ELb1ELi32EPK19rocblas_complex_numIfEPKS3_PKPS1_EvbiiT2_T3_lllSA_lllT4_llli.kd
    .uniform_work_group_size: 1
    .uses_dynamic_stack: false
    .vgpr_count:     48
    .vgpr_spill_count: 0
    .wavefront_size: 64
  - .agpr_count:     0
    .args:
      - .offset:         0
        .size:           1
        .value_kind:     by_value
      - .offset:         4
        .size:           4
        .value_kind:     by_value
      - .offset:         8
        .size:           4
        .value_kind:     by_value
      - .offset:         12
        .size:           8
        .value_kind:     by_value
      - .address_space:  global
        .offset:         24
        .size:           8
        .value_kind:     global_buffer
      - .offset:         32
        .size:           8
        .value_kind:     by_value
      - .offset:         40
        .size:           8
        .value_kind:     by_value
      - .offset:         48
        .size:           8
        .value_kind:     by_value
      - .address_space:  global
        .offset:         56
        .size:           8
        .value_kind:     global_buffer
      - .offset:         64
        .size:           8
        .value_kind:     by_value
      - .offset:         72
        .size:           8
        .value_kind:     by_value
      - .offset:         80
        .size:           8
        .value_kind:     by_value
      - .address_space:  global
        .offset:         88
        .size:           8
        .value_kind:     global_buffer
      - .offset:         96
        .size:           8
        .value_kind:     by_value
      - .offset:         104
        .size:           8
        .value_kind:     by_value
      - .offset:         112
        .size:           8
        .value_kind:     by_value
      - .offset:         120
        .size:           4
        .value_kind:     by_value
      - .offset:         128
        .size:           4
        .value_kind:     hidden_block_count_x
      - .offset:         132
        .size:           4
        .value_kind:     hidden_block_count_y
      - .offset:         136
        .size:           4
        .value_kind:     hidden_block_count_z
      - .offset:         140
        .size:           2
        .value_kind:     hidden_group_size_x
      - .offset:         142
        .size:           2
        .value_kind:     hidden_group_size_y
      - .offset:         144
        .size:           2
        .value_kind:     hidden_group_size_z
      - .offset:         146
        .size:           2
        .value_kind:     hidden_remainder_x
      - .offset:         148
        .size:           2
        .value_kind:     hidden_remainder_y
      - .offset:         150
        .size:           2
        .value_kind:     hidden_remainder_z
      - .offset:         168
        .size:           8
        .value_kind:     hidden_global_offset_x
      - .offset:         176
        .size:           8
        .value_kind:     hidden_global_offset_y
      - .offset:         184
        .size:           8
        .value_kind:     hidden_global_offset_z
      - .offset:         192
        .size:           2
        .value_kind:     hidden_grid_dims
    .group_segment_fixed_size: 16384
    .kernarg_segment_align: 8
    .kernarg_segment_size: 384
    .language:       OpenCL C
    .language_version:
      - 2
      - 0
    .max_flat_workgroup_size: 1024
    .name:           _ZL24rocblas_symm_hemm_kernelILb1ELb0ELi32E19rocblas_complex_numIfEPKPKS1_PKPS1_EvbiiT2_T3_lllSA_lllT4_llli
    .private_segment_fixed_size: 0
    .sgpr_count:     42
    .sgpr_spill_count: 0
    .symbol:         _ZL24rocblas_symm_hemm_kernelILb1ELb0ELi32E19rocblas_complex_numIfEPKPKS1_PKPS1_EvbiiT2_T3_lllSA_lllT4_llli.kd
    .uniform_work_group_size: 1
    .uses_dynamic_stack: false
    .vgpr_count:     46
    .vgpr_spill_count: 0
    .wavefront_size: 64
  - .agpr_count:     0
    .args:
      - .offset:         0
        .size:           1
        .value_kind:     by_value
      - .offset:         4
        .size:           4
        .value_kind:     by_value
      - .offset:         8
        .size:           4
        .value_kind:     by_value
      - .offset:         12
        .size:           8
        .value_kind:     by_value
      - .address_space:  global
        .offset:         24
        .size:           8
        .value_kind:     global_buffer
      - .offset:         32
        .size:           8
        .value_kind:     by_value
      - .offset:         40
        .size:           8
        .value_kind:     by_value
      - .offset:         48
        .size:           8
        .value_kind:     by_value
      - .address_space:  global
        .offset:         56
        .size:           8
        .value_kind:     global_buffer
      - .offset:         64
        .size:           8
        .value_kind:     by_value
      - .offset:         72
        .size:           8
        .value_kind:     by_value
      - .offset:         80
        .size:           8
        .value_kind:     by_value
      - .address_space:  global
        .offset:         88
        .size:           8
        .value_kind:     global_buffer
      - .offset:         96
        .size:           8
        .value_kind:     by_value
      - .offset:         104
        .size:           8
        .value_kind:     by_value
      - .offset:         112
        .size:           8
        .value_kind:     by_value
      - .offset:         120
        .size:           4
        .value_kind:     by_value
      - .offset:         128
        .size:           4
        .value_kind:     hidden_block_count_x
      - .offset:         132
        .size:           4
        .value_kind:     hidden_block_count_y
      - .offset:         136
        .size:           4
        .value_kind:     hidden_block_count_z
      - .offset:         140
        .size:           2
        .value_kind:     hidden_group_size_x
      - .offset:         142
        .size:           2
        .value_kind:     hidden_group_size_y
      - .offset:         144
        .size:           2
        .value_kind:     hidden_group_size_z
      - .offset:         146
        .size:           2
        .value_kind:     hidden_remainder_x
      - .offset:         148
        .size:           2
        .value_kind:     hidden_remainder_y
      - .offset:         150
        .size:           2
        .value_kind:     hidden_remainder_z
      - .offset:         168
        .size:           8
        .value_kind:     hidden_global_offset_x
      - .offset:         176
        .size:           8
        .value_kind:     hidden_global_offset_y
      - .offset:         184
        .size:           8
        .value_kind:     hidden_global_offset_z
      - .offset:         192
        .size:           2
        .value_kind:     hidden_grid_dims
    .group_segment_fixed_size: 16384
    .kernarg_segment_align: 8
    .kernarg_segment_size: 384
    .language:       OpenCL C
    .language_version:
      - 2
      - 0
    .max_flat_workgroup_size: 1024
    .name:           _ZL24rocblas_symm_hemm_kernelILb1ELb1ELi32E19rocblas_complex_numIfEPKPKS1_PKPS1_EvbiiT2_T3_lllSA_lllT4_llli
    .private_segment_fixed_size: 0
    .sgpr_count:     46
    .sgpr_spill_count: 0
    .symbol:         _ZL24rocblas_symm_hemm_kernelILb1ELb1ELi32E19rocblas_complex_numIfEPKPKS1_PKPS1_EvbiiT2_T3_lllSA_lllT4_llli.kd
    .uniform_work_group_size: 1
    .uses_dynamic_stack: false
    .vgpr_count:     48
    .vgpr_spill_count: 0
    .wavefront_size: 64
  - .agpr_count:     0
    .args:
      - .offset:         0
        .size:           1
        .value_kind:     by_value
      - .offset:         4
        .size:           4
        .value_kind:     by_value
      - .offset:         8
        .size:           4
        .value_kind:     by_value
      - .address_space:  global
        .offset:         16
        .size:           8
        .value_kind:     global_buffer
      - .address_space:  global
        .offset:         24
        .size:           8
        .value_kind:     global_buffer
      - .offset:         32
        .size:           8
        .value_kind:     by_value
      - .offset:         40
        .size:           8
        .value_kind:     by_value
      - .offset:         48
        .size:           8
        .value_kind:     by_value
      - .address_space:  global
        .offset:         56
        .size:           8
        .value_kind:     global_buffer
      - .offset:         64
        .size:           8
        .value_kind:     by_value
      - .offset:         72
        .size:           8
        .value_kind:     by_value
      - .offset:         80
        .size:           8
        .value_kind:     by_value
      - .address_space:  global
        .offset:         88
        .size:           8
        .value_kind:     global_buffer
      - .offset:         96
        .size:           8
        .value_kind:     by_value
      - .offset:         104
        .size:           8
        .value_kind:     by_value
      - .offset:         112
        .size:           8
        .value_kind:     by_value
      - .offset:         120
        .size:           4
        .value_kind:     by_value
      - .offset:         128
        .size:           4
        .value_kind:     hidden_block_count_x
      - .offset:         132
        .size:           4
        .value_kind:     hidden_block_count_y
      - .offset:         136
        .size:           4
        .value_kind:     hidden_block_count_z
      - .offset:         140
        .size:           2
        .value_kind:     hidden_group_size_x
      - .offset:         142
        .size:           2
        .value_kind:     hidden_group_size_y
      - .offset:         144
        .size:           2
        .value_kind:     hidden_group_size_z
      - .offset:         146
        .size:           2
        .value_kind:     hidden_remainder_x
      - .offset:         148
        .size:           2
        .value_kind:     hidden_remainder_y
      - .offset:         150
        .size:           2
        .value_kind:     hidden_remainder_z
      - .offset:         168
        .size:           8
        .value_kind:     hidden_global_offset_x
      - .offset:         176
        .size:           8
        .value_kind:     hidden_global_offset_y
      - .offset:         184
        .size:           8
        .value_kind:     hidden_global_offset_z
      - .offset:         192
        .size:           2
        .value_kind:     hidden_grid_dims
    .group_segment_fixed_size: 32768
    .kernarg_segment_align: 8
    .kernarg_segment_size: 384
    .language:       OpenCL C
    .language_version:
      - 2
      - 0
    .max_flat_workgroup_size: 1024
    .name:           _ZL24rocblas_symm_hemm_kernelILb1ELb0ELi32EPK19rocblas_complex_numIdEPKS3_PKPS1_EvbiiT2_T3_lllSA_lllT4_llli
    .private_segment_fixed_size: 0
    .sgpr_count:     42
    .sgpr_spill_count: 0
    .symbol:         _ZL24rocblas_symm_hemm_kernelILb1ELb0ELi32EPK19rocblas_complex_numIdEPKS3_PKPS1_EvbiiT2_T3_lllSA_lllT4_llli.kd
    .uniform_work_group_size: 1
    .uses_dynamic_stack: false
    .vgpr_count:     46
    .vgpr_spill_count: 0
    .wavefront_size: 64
  - .agpr_count:     0
    .args:
      - .offset:         0
        .size:           1
        .value_kind:     by_value
      - .offset:         4
        .size:           4
        .value_kind:     by_value
      - .offset:         8
        .size:           4
        .value_kind:     by_value
      - .address_space:  global
        .offset:         16
        .size:           8
        .value_kind:     global_buffer
      - .address_space:  global
        .offset:         24
        .size:           8
        .value_kind:     global_buffer
      - .offset:         32
        .size:           8
        .value_kind:     by_value
      - .offset:         40
        .size:           8
        .value_kind:     by_value
      - .offset:         48
        .size:           8
        .value_kind:     by_value
      - .address_space:  global
        .offset:         56
        .size:           8
        .value_kind:     global_buffer
      - .offset:         64
        .size:           8
        .value_kind:     by_value
      - .offset:         72
        .size:           8
        .value_kind:     by_value
      - .offset:         80
        .size:           8
        .value_kind:     by_value
      - .address_space:  global
        .offset:         88
        .size:           8
        .value_kind:     global_buffer
      - .offset:         96
        .size:           8
        .value_kind:     by_value
      - .offset:         104
        .size:           8
        .value_kind:     by_value
      - .offset:         112
        .size:           8
        .value_kind:     by_value
      - .offset:         120
        .size:           4
        .value_kind:     by_value
      - .offset:         128
        .size:           4
        .value_kind:     hidden_block_count_x
      - .offset:         132
        .size:           4
        .value_kind:     hidden_block_count_y
      - .offset:         136
        .size:           4
        .value_kind:     hidden_block_count_z
      - .offset:         140
        .size:           2
        .value_kind:     hidden_group_size_x
      - .offset:         142
        .size:           2
        .value_kind:     hidden_group_size_y
      - .offset:         144
        .size:           2
        .value_kind:     hidden_group_size_z
      - .offset:         146
        .size:           2
        .value_kind:     hidden_remainder_x
      - .offset:         148
        .size:           2
        .value_kind:     hidden_remainder_y
      - .offset:         150
        .size:           2
        .value_kind:     hidden_remainder_z
      - .offset:         168
        .size:           8
        .value_kind:     hidden_global_offset_x
      - .offset:         176
        .size:           8
        .value_kind:     hidden_global_offset_y
      - .offset:         184
        .size:           8
        .value_kind:     hidden_global_offset_z
      - .offset:         192
        .size:           2
        .value_kind:     hidden_grid_dims
    .group_segment_fixed_size: 32768
    .kernarg_segment_align: 8
    .kernarg_segment_size: 384
    .language:       OpenCL C
    .language_version:
      - 2
      - 0
    .max_flat_workgroup_size: 1024
    .name:           _ZL24rocblas_symm_hemm_kernelILb1ELb1ELi32EPK19rocblas_complex_numIdEPKS3_PKPS1_EvbiiT2_T3_lllSA_lllT4_llli
    .private_segment_fixed_size: 0
    .sgpr_count:     46
    .sgpr_spill_count: 0
    .symbol:         _ZL24rocblas_symm_hemm_kernelILb1ELb1ELi32EPK19rocblas_complex_numIdEPKS3_PKPS1_EvbiiT2_T3_lllSA_lllT4_llli.kd
    .uniform_work_group_size: 1
    .uses_dynamic_stack: false
    .vgpr_count:     48
    .vgpr_spill_count: 0
    .wavefront_size: 64
  - .agpr_count:     0
    .args:
      - .offset:         0
        .size:           1
        .value_kind:     by_value
      - .offset:         4
        .size:           4
        .value_kind:     by_value
      - .offset:         8
        .size:           4
        .value_kind:     by_value
      - .offset:         16
        .size:           16
        .value_kind:     by_value
      - .address_space:  global
        .offset:         32
        .size:           8
        .value_kind:     global_buffer
      - .offset:         40
        .size:           8
        .value_kind:     by_value
      - .offset:         48
        .size:           8
        .value_kind:     by_value
      - .offset:         56
        .size:           8
        .value_kind:     by_value
      - .address_space:  global
        .offset:         64
        .size:           8
        .value_kind:     global_buffer
      - .offset:         72
        .size:           8
        .value_kind:     by_value
      - .offset:         80
        .size:           8
        .value_kind:     by_value
      - .offset:         88
        .size:           8
        .value_kind:     by_value
      - .address_space:  global
        .offset:         96
        .size:           8
        .value_kind:     global_buffer
      - .offset:         104
        .size:           8
        .value_kind:     by_value
      - .offset:         112
        .size:           8
        .value_kind:     by_value
      - .offset:         120
        .size:           8
        .value_kind:     by_value
      - .offset:         128
        .size:           4
        .value_kind:     by_value
      - .offset:         136
        .size:           4
        .value_kind:     hidden_block_count_x
      - .offset:         140
        .size:           4
        .value_kind:     hidden_block_count_y
      - .offset:         144
        .size:           4
        .value_kind:     hidden_block_count_z
      - .offset:         148
        .size:           2
        .value_kind:     hidden_group_size_x
      - .offset:         150
        .size:           2
        .value_kind:     hidden_group_size_y
      - .offset:         152
        .size:           2
        .value_kind:     hidden_group_size_z
      - .offset:         154
        .size:           2
        .value_kind:     hidden_remainder_x
      - .offset:         156
        .size:           2
        .value_kind:     hidden_remainder_y
      - .offset:         158
        .size:           2
        .value_kind:     hidden_remainder_z
      - .offset:         176
        .size:           8
        .value_kind:     hidden_global_offset_x
      - .offset:         184
        .size:           8
        .value_kind:     hidden_global_offset_y
      - .offset:         192
        .size:           8
        .value_kind:     hidden_global_offset_z
      - .offset:         200
        .size:           2
        .value_kind:     hidden_grid_dims
    .group_segment_fixed_size: 32768
    .kernarg_segment_align: 8
    .kernarg_segment_size: 392
    .language:       OpenCL C
    .language_version:
      - 2
      - 0
    .max_flat_workgroup_size: 1024
    .name:           _ZL24rocblas_symm_hemm_kernelILb1ELb0ELi32E19rocblas_complex_numIdEPKPKS1_PKPS1_EvbiiT2_T3_lllSA_lllT4_llli
    .private_segment_fixed_size: 0
    .sgpr_count:     42
    .sgpr_spill_count: 0
    .symbol:         _ZL24rocblas_symm_hemm_kernelILb1ELb0ELi32E19rocblas_complex_numIdEPKPKS1_PKPS1_EvbiiT2_T3_lllSA_lllT4_llli.kd
    .uniform_work_group_size: 1
    .uses_dynamic_stack: false
    .vgpr_count:     46
    .vgpr_spill_count: 0
    .wavefront_size: 64
  - .agpr_count:     0
    .args:
      - .offset:         0
        .size:           1
        .value_kind:     by_value
      - .offset:         4
        .size:           4
        .value_kind:     by_value
      - .offset:         8
        .size:           4
        .value_kind:     by_value
      - .offset:         16
        .size:           16
        .value_kind:     by_value
      - .address_space:  global
        .offset:         32
        .size:           8
        .value_kind:     global_buffer
      - .offset:         40
        .size:           8
        .value_kind:     by_value
      - .offset:         48
        .size:           8
        .value_kind:     by_value
      - .offset:         56
        .size:           8
        .value_kind:     by_value
      - .address_space:  global
        .offset:         64
        .size:           8
        .value_kind:     global_buffer
      - .offset:         72
        .size:           8
        .value_kind:     by_value
      - .offset:         80
        .size:           8
        .value_kind:     by_value
      - .offset:         88
        .size:           8
        .value_kind:     by_value
      - .address_space:  global
        .offset:         96
        .size:           8
        .value_kind:     global_buffer
      - .offset:         104
        .size:           8
        .value_kind:     by_value
      - .offset:         112
        .size:           8
        .value_kind:     by_value
      - .offset:         120
        .size:           8
        .value_kind:     by_value
      - .offset:         128
        .size:           4
        .value_kind:     by_value
      - .offset:         136
        .size:           4
        .value_kind:     hidden_block_count_x
      - .offset:         140
        .size:           4
        .value_kind:     hidden_block_count_y
      - .offset:         144
        .size:           4
        .value_kind:     hidden_block_count_z
      - .offset:         148
        .size:           2
        .value_kind:     hidden_group_size_x
      - .offset:         150
        .size:           2
        .value_kind:     hidden_group_size_y
      - .offset:         152
        .size:           2
        .value_kind:     hidden_group_size_z
      - .offset:         154
        .size:           2
        .value_kind:     hidden_remainder_x
      - .offset:         156
        .size:           2
        .value_kind:     hidden_remainder_y
      - .offset:         158
        .size:           2
        .value_kind:     hidden_remainder_z
      - .offset:         176
        .size:           8
        .value_kind:     hidden_global_offset_x
      - .offset:         184
        .size:           8
        .value_kind:     hidden_global_offset_y
      - .offset:         192
        .size:           8
        .value_kind:     hidden_global_offset_z
      - .offset:         200
        .size:           2
        .value_kind:     hidden_grid_dims
    .group_segment_fixed_size: 32768
    .kernarg_segment_align: 8
    .kernarg_segment_size: 392
    .language:       OpenCL C
    .language_version:
      - 2
      - 0
    .max_flat_workgroup_size: 1024
    .name:           _ZL24rocblas_symm_hemm_kernelILb1ELb1ELi32E19rocblas_complex_numIdEPKPKS1_PKPS1_EvbiiT2_T3_lllSA_lllT4_llli
    .private_segment_fixed_size: 0
    .sgpr_count:     38
    .sgpr_spill_count: 0
    .symbol:         _ZL24rocblas_symm_hemm_kernelILb1ELb1ELi32E19rocblas_complex_numIdEPKPKS1_PKPS1_EvbiiT2_T3_lllSA_lllT4_llli.kd
    .uniform_work_group_size: 1
    .uses_dynamic_stack: false
    .vgpr_count:     48
    .vgpr_spill_count: 0
    .wavefront_size: 64
amdhsa.target:   amdgcn-amd-amdhsa--gfx950
amdhsa.version:
  - 1
  - 2
...

	.end_amdgpu_metadata
